;; amdgpu-corpus repo=zjin-lcf/HeCBench kind=compiled arch=gfx1030 opt=O3
	.amdgcn_target "amdgcn-amd-amdhsa--gfx1030"
	.amdhsa_code_object_version 6
	.text
	.protected	_Z6InputsPiPN2rw3CutEi  ; -- Begin function _Z6InputsPiPN2rw3CutEi
	.globl	_Z6InputsPiPN2rw3CutEi
	.p2align	8
	.type	_Z6InputsPiPN2rw3CutEi,@function
_Z6InputsPiPN2rw3CutEi:                 ; @_Z6InputsPiPN2rw3CutEi
; %bb.0:
	s_clause 0x1
	s_load_dword s0, s[4:5], 0x24
	s_load_dword s1, s[4:5], 0x10
	s_waitcnt lgkmcnt(0)
	s_and_b32 s0, s0, 0xffff
	s_mul_i32 s6, s6, s0
	s_mov_b32 s0, exec_lo
	v_add3_u32 v1, v0, s6, 1
	v_cmpx_ge_i32_e64 s1, v1
	s_cbranch_execz .LBB0_2
; %bb.1:
	s_load_dwordx2 s[0:1], s[4:5], 0x8
	v_lshlrev_b32_e32 v0, 3, v1
	v_mov_b32_e32 v5, 1
	s_waitcnt lgkmcnt(0)
	v_mad_i64_i32 v[2:3], null, v0, 28, s[0:1]
	s_brev_b32 s0, 1
	v_lshlrev_b32_e64 v0, v1, 1
	global_load_dword v4, v[2:3], off offset:20
	s_waitcnt vmcnt(0)
	v_and_or_b32 v4, v4, s0, 0xbe9aaaa
	global_store_byte v[2:3], v5, off offset:24
	global_store_dwordx2 v[2:3], v[0:1], off
	global_store_dword v[2:3], v4, off offset:20
.LBB0_2:
	s_endpgm
	.section	.rodata,"a",@progbits
	.p2align	6, 0x0
	.amdhsa_kernel _Z6InputsPiPN2rw3CutEi
		.amdhsa_group_segment_fixed_size 0
		.amdhsa_private_segment_fixed_size 0
		.amdhsa_kernarg_size 280
		.amdhsa_user_sgpr_count 6
		.amdhsa_user_sgpr_private_segment_buffer 1
		.amdhsa_user_sgpr_dispatch_ptr 0
		.amdhsa_user_sgpr_queue_ptr 0
		.amdhsa_user_sgpr_kernarg_segment_ptr 1
		.amdhsa_user_sgpr_dispatch_id 0
		.amdhsa_user_sgpr_flat_scratch_init 0
		.amdhsa_user_sgpr_private_segment_size 0
		.amdhsa_wavefront_size32 1
		.amdhsa_uses_dynamic_stack 0
		.amdhsa_system_sgpr_private_segment_wavefront_offset 0
		.amdhsa_system_sgpr_workgroup_id_x 1
		.amdhsa_system_sgpr_workgroup_id_y 0
		.amdhsa_system_sgpr_workgroup_id_z 0
		.amdhsa_system_sgpr_workgroup_info 0
		.amdhsa_system_vgpr_workitem_id 0
		.amdhsa_next_free_vgpr 6
		.amdhsa_next_free_sgpr 7
		.amdhsa_reserve_vcc 0
		.amdhsa_reserve_flat_scratch 0
		.amdhsa_float_round_mode_32 0
		.amdhsa_float_round_mode_16_64 0
		.amdhsa_float_denorm_mode_32 3
		.amdhsa_float_denorm_mode_16_64 3
		.amdhsa_dx10_clamp 1
		.amdhsa_ieee_mode 1
		.amdhsa_fp16_overflow 0
		.amdhsa_workgroup_processor_mode 1
		.amdhsa_memory_ordered 1
		.amdhsa_forward_progress 1
		.amdhsa_shared_vgpr_count 0
		.amdhsa_exception_fp_ieee_invalid_op 0
		.amdhsa_exception_fp_denorm_src 0
		.amdhsa_exception_fp_ieee_div_zero 0
		.amdhsa_exception_fp_ieee_overflow 0
		.amdhsa_exception_fp_ieee_underflow 0
		.amdhsa_exception_fp_ieee_inexact 0
		.amdhsa_exception_int_div_zero 0
	.end_amdhsa_kernel
	.text
.Lfunc_end0:
	.size	_Z6InputsPiPN2rw3CutEi, .Lfunc_end0-_Z6InputsPiPN2rw3CutEi
                                        ; -- End function
	.set _Z6InputsPiPN2rw3CutEi.num_vgpr, 6
	.set _Z6InputsPiPN2rw3CutEi.num_agpr, 0
	.set _Z6InputsPiPN2rw3CutEi.numbered_sgpr, 7
	.set _Z6InputsPiPN2rw3CutEi.num_named_barrier, 0
	.set _Z6InputsPiPN2rw3CutEi.private_seg_size, 0
	.set _Z6InputsPiPN2rw3CutEi.uses_vcc, 0
	.set _Z6InputsPiPN2rw3CutEi.uses_flat_scratch, 0
	.set _Z6InputsPiPN2rw3CutEi.has_dyn_sized_stack, 0
	.set _Z6InputsPiPN2rw3CutEi.has_recursion, 0
	.set _Z6InputsPiPN2rw3CutEi.has_indirect_call, 0
	.section	.AMDGPU.csdata,"",@progbits
; Kernel info:
; codeLenInByte = 152
; TotalNumSgprs: 7
; NumVgprs: 6
; ScratchSize: 0
; MemoryBound: 0
; FloatMode: 240
; IeeeMode: 1
; LDSByteSize: 0 bytes/workgroup (compile time only)
; SGPRBlocks: 0
; VGPRBlocks: 0
; NumSGPRsForWavesPerEU: 7
; NumVGPRsForWavesPerEU: 6
; Occupancy: 16
; WaveLimiterHint : 0
; COMPUTE_PGM_RSRC2:SCRATCH_EN: 0
; COMPUTE_PGM_RSRC2:USER_SGPR: 6
; COMPUTE_PGM_RSRC2:TRAP_HANDLER: 0
; COMPUTE_PGM_RSRC2:TGID_X_EN: 1
; COMPUTE_PGM_RSRC2:TGID_Y_EN: 0
; COMPUTE_PGM_RSRC2:TGID_Z_EN: 0
; COMPUTE_PGM_RSRC2:TIDIG_COMP_CNT: 0
	.text
	.protected	_Z12CutEnumeratePiS_S_S_S_PN2rw3CutEii ; -- Begin function _Z12CutEnumeratePiS_S_S_S_PN2rw3CutEii
	.globl	_Z12CutEnumeratePiS_S_S_S_PN2rw3CutEii
	.p2align	8
	.type	_Z12CutEnumeratePiS_S_S_S_PN2rw3CutEii,@function
_Z12CutEnumeratePiS_S_S_S_PN2rw3CutEii: ; @_Z12CutEnumeratePiS_S_S_S_PN2rw3CutEii
; %bb.0:
	s_add_u32 s0, s0, s9
	s_clause 0x1
	s_load_dword s9, s[6:7], 0x44
	s_load_dwordx2 s[20:21], s[6:7], 0x30
	s_addc_u32 s1, s1, 0
	s_waitcnt lgkmcnt(0)
	s_and_b32 s9, s9, 0xffff
	v_mad_u64_u32 v[3:4], null, s8, s9, v[0:1]
	s_mov_b32 s8, exec_lo
	v_cmpx_gt_i32_e64 s21, v3
	s_cbranch_execz .LBB1_504
; %bb.1:
	s_load_dwordx4 s[16:19], s[6:7], 0x20
	v_add3_u32 v4, s20, 1, v3
	s_load_dwordx8 s[8:15], s[6:7], 0x0
	v_ashrrev_i32_e32 v6, 31, v3
	s_ashr_i32 s6, s20, 31
	v_mov_b32_e32 v28, 1
	v_lshlrev_b32_e32 v5, 3, v4
	s_load_dwordx2 s[4:5], s[4:5], 0x4
	v_mov_b32_e32 v35, 0
	s_waitcnt lgkmcnt(0)
	v_mad_i64_i32 v[12:13], null, v5, 28, s[18:19]
	v_add_co_u32 v5, vcc_lo, s20, v3
	v_add_co_ci_u32_e64 v6, null, s6, v6, vcc_lo
	s_brev_b32 s6, 1
	v_lshlrev_b32_e64 v3, v4, 1
	global_load_dword v9, v[12:13], off offset:20
	v_lshlrev_b64 v[5:6], 2, v[5:6]
	s_lshr_b32 s4, s4, 16
	v_mul_u32_u24_e32 v1, s5, v1
	s_mul_i32 s4, s4, s5
	s_mov_b32 s20, 32
	v_mul_lo_u32 v0, s4, v0
	v_add_co_u32 v7, vcc_lo, s8, v5
	v_add_co_ci_u32_e64 v8, null, s9, v6, vcc_lo
	s_movk_i32 s8, 0x74
	s_movk_i32 s9, 0x74
	v_add3_u32 v0, v0, v1, v2
	v_mul_lo_u32 v1, v0, 28
	v_lshl_add_u32 v29, v0, 1, v0
	v_add_nc_u32_e32 v30, 0x7c00, v1
	v_add_nc_u32_e32 v31, 0xc00, v1
	;; [unrolled: 1-line block ×3, first 2 shown]
	s_waitcnt vmcnt(0)
	v_and_or_b32 v11, v9, s6, 0xbe9aaaa
	v_add_co_u32 v9, vcc_lo, s10, v5
	v_add_co_ci_u32_e64 v10, null, s11, v6, vcc_lo
	global_store_byte v[12:13], v28, off offset:24
	global_store_dwordx2 v[12:13], v[3:4], off
	global_store_dword v[12:13], v11, off offset:20
	global_load_dword v3, v[7:8], off offset:4
	global_load_dword v4, v[9:10], off offset:4
	v_add_co_u32 v14, vcc_lo, s12, v5
	v_add_co_ci_u32_e64 v15, null, s13, v6, vcc_lo
	v_add_co_u32 v16, vcc_lo, s14, v5
	v_add_co_ci_u32_e64 v17, null, s15, v6, vcc_lo
	;; [unrolled: 2-line block ×3, first 2 shown]
	s_movk_i32 s10, 0xc8
	s_movk_i32 s11, 0x100
	;; [unrolled: 1-line block ×3, first 2 shown]
	s_mov_b32 s13, 0
	s_mov_b32 s14, 0
	s_waitcnt vmcnt(1)
	v_lshlrev_b32_e32 v33, 3, v3
	s_waitcnt vmcnt(0)
	v_lshlrev_b32_e32 v34, 3, v4
	s_branch .LBB1_3
.LBB1_2:                                ;   in Loop: Header=BB1_3 Depth=1
	s_or_b32 exec_lo, exec_lo, s6
	s_and_b32 s4, exec_lo, s5
	s_or_b32 s13, s4, s13
	s_andn2_b32 exec_lo, exec_lo, s13
	s_cbranch_execz .LBB1_504
.LBB1_3:                                ; =>This Loop Header: Depth=1
                                        ;     Child Loop BB1_6 Depth 2
                                        ;       Child Loop BB1_185 Depth 3
                                        ;         Child Loop BB1_193 Depth 4
                                        ;           Child Loop BB1_194 Depth 5
                                        ;         Child Loop BB1_209 Depth 4
                                        ;           Child Loop BB1_210 Depth 5
                                        ;       Child Loop BB1_264 Depth 3
                                        ;         Child Loop BB1_266 Depth 4
                                        ;       Child Loop BB1_312 Depth 3
                                        ;       Child Loop BB1_360 Depth 3
	;; [unrolled: 1-line block ×3, first 2 shown]
                                        ;         Child Loop BB1_380 Depth 4
                                        ;       Child Loop BB1_388 Depth 3
                                        ;       Child Loop BB1_404 Depth 3
	;; [unrolled: 1-line block ×6, first 2 shown]
                                        ;         Child Loop BB1_453 Depth 4
                                        ;           Child Loop BB1_454 Depth 5
                                        ;         Child Loop BB1_469 Depth 4
                                        ;           Child Loop BB1_470 Depth 5
                                        ;       Child Loop BB1_489 Depth 3
	v_add_nc_u32_e32 v0, s14, v33
	s_mov_b32 s4, -1
	s_mov_b32 s15, exec_lo
	v_mad_i64_i32 v[20:21], null, v0, 28, s[18:19]
	global_load_ubyte v0, v[20:21], off offset:24
	s_waitcnt vmcnt(0)
	v_and_b32_e32 v0, 1, v0
	v_cmpx_eq_u32_e32 1, v0
	s_cbranch_execz .LBB1_502
; %bb.4:                                ;   in Loop: Header=BB1_3 Depth=1
	s_mov_b32 s21, 0
	s_mov_b32 s22, 0
                                        ; implicit-def: $sgpr23
	s_branch .LBB1_6
.LBB1_5:                                ;   in Loop: Header=BB1_6 Depth=2
	s_or_b32 exec_lo, exec_lo, s5
	s_xor_b32 s4, s4, -1
	s_and_b32 s5, exec_lo, s24
	s_or_b32 s21, s5, s21
	s_andn2_b32 s5, s23, exec_lo
	s_and_b32 s4, s4, exec_lo
	s_or_b32 s23, s5, s4
	s_andn2_b32 exec_lo, exec_lo, s21
	s_cbranch_execz .LBB1_501
.LBB1_6:                                ;   Parent Loop BB1_3 Depth=1
                                        ; =>  This Loop Header: Depth=2
                                        ;       Child Loop BB1_185 Depth 3
                                        ;         Child Loop BB1_193 Depth 4
                                        ;           Child Loop BB1_194 Depth 5
                                        ;         Child Loop BB1_209 Depth 4
                                        ;           Child Loop BB1_210 Depth 5
                                        ;       Child Loop BB1_264 Depth 3
                                        ;         Child Loop BB1_266 Depth 4
                                        ;       Child Loop BB1_312 Depth 3
                                        ;       Child Loop BB1_360 Depth 3
	;; [unrolled: 1-line block ×3, first 2 shown]
                                        ;         Child Loop BB1_380 Depth 4
                                        ;       Child Loop BB1_388 Depth 3
                                        ;       Child Loop BB1_404 Depth 3
                                        ;       Child Loop BB1_417 Depth 3
                                        ;       Child Loop BB1_430 Depth 3
                                        ;       Child Loop BB1_440 Depth 3
                                        ;       Child Loop BB1_445 Depth 3
                                        ;         Child Loop BB1_453 Depth 4
                                        ;           Child Loop BB1_454 Depth 5
                                        ;         Child Loop BB1_469 Depth 4
                                        ;           Child Loop BB1_470 Depth 5
                                        ;       Child Loop BB1_489 Depth 3
	v_add_nc_u32_e32 v0, s22, v34
	s_mov_b32 s24, -1
	s_mov_b32 s6, -1
	s_mov_b32 s25, exec_lo
	v_mad_i64_i32 v[8:9], null, v0, 28, s[18:19]
	global_load_ubyte v0, v[8:9], off offset:24
	s_waitcnt vmcnt(0)
	v_and_b32_e32 v0, 1, v0
	v_cmpx_eq_u32_e32 1, v0
	s_cbranch_execz .LBB1_499
; %bb.7:                                ;   in Loop: Header=BB1_6 Depth=2
	s_clause 0x5
	global_load_dwordx4 v[0:3], v[8:9], off
	global_load_dwordx4 v[4:7], v[20:21], off
	global_load_dwordx2 v[26:27], v[20:21], off offset:16
	global_load_ushort v10, v[8:9], off offset:25
	global_load_ubyte v11, v[8:9], off offset:27
	global_load_dwordx2 v[24:25], v[8:9], off offset:16
	s_mov_b32 s26, exec_lo
	s_waitcnt vmcnt(2)
	ds_write_b16 v29, v10
	s_waitcnt vmcnt(1)
	ds_write_b8 v29, v11 offset:2
	v_or_b32_e32 v0, v0, v4
	v_lshrrev_b32_e32 v4, 1, v0
	v_and_b32_e32 v8, 0x55555555, v0
	v_and_b32_e32 v4, 0x55555555, v4
	v_add_nc_u32_e32 v4, v4, v8
	v_lshrrev_b32_e32 v8, 2, v4
	v_and_b32_e32 v4, 0x33333333, v4
	v_and_b32_e32 v8, 0x33333333, v8
	v_add_nc_u32_e32 v4, v8, v4
	v_lshrrev_b32_e32 v8, 4, v4
	v_and_b32_e32 v4, 0x7070707, v4
	v_and_b32_e32 v8, 0x7070707, v8
	v_add_nc_u32_e32 v4, v8, v4
	v_lshrrev_b32_e32 v8, 8, v4
	v_and_b32_e32 v4, 0xf000f, v4
	v_and_b32_e32 v8, 0xf000f, v8
	v_add_nc_u32_e32 v4, v8, v4
	v_and_b32_e32 v8, 31, v4
	v_add_nc_u32_sdwa v4, v8, v4 dst_sel:DWORD dst_unused:UNUSED_PAD src0_sel:DWORD src1_sel:WORD_1
	v_mov_b32_e32 v8, 7
	v_cmpx_gt_u32_e32 5, v4
	s_cbranch_execz .LBB1_496
; %bb.8:                                ;   in Loop: Header=BB1_6 Depth=2
	s_clause 0x1
	global_load_ubyte v4, v[12:13], off offset:24
	global_load_ubyte v36, v[20:21], off offset:24
	s_waitcnt vmcnt(1)
	v_cmp_ne_u16_e32 vcc_lo, 0, v4
	v_mov_b32_e32 v4, 0
	s_and_saveexec_b32 s5, vcc_lo
	s_cbranch_execz .LBB1_154
; %bb.9:                                ;   in Loop: Header=BB1_6 Depth=2
	global_load_ubyte v4, v[12:13], off offset:52
	s_waitcnt vmcnt(0)
	v_cmp_ne_u16_e32 vcc_lo, 0, v4
	v_mov_b32_e32 v4, 1
	s_and_saveexec_b32 s6, vcc_lo
	s_cbranch_execz .LBB1_153
; %bb.10:                               ;   in Loop: Header=BB1_6 Depth=2
	global_load_ubyte v4, v[12:13], off offset:80
	s_waitcnt vmcnt(0)
	v_cmp_ne_u16_e32 vcc_lo, 0, v4
	v_mov_b32_e32 v4, 2
	s_and_saveexec_b32 s7, vcc_lo
	s_cbranch_execz .LBB1_152
; %bb.11:                               ;   in Loop: Header=BB1_6 Depth=2
	;; [unrolled: 7-line block ×7, first 2 shown]
	s_clause 0x1
	global_load_dword v8, v[12:13], off offset:20
	global_load_dword v9, v[12:13], off offset:48
	s_mov_b32 s33, exec_lo
	s_waitcnt vmcnt(1)
	v_and_b32_e32 v40, 0x78000000, v8
	s_waitcnt vmcnt(0)
	v_and_b32_e32 v39, 0x78000000, v9
	v_cmp_gt_u32_e64 s34, 0x10000001, v40
	v_cmp_lt_u32_e32 vcc_lo, 0x10000000, v40
	v_cndmask_b32_e64 v4, 0, -1, s34
	v_cmpx_lt_u32_e32 0x10000000, v39
	s_cbranch_execz .LBB1_22
; %bb.17:                               ;   in Loop: Header=BB1_6 Depth=2
	s_and_saveexec_b32 s4, vcc_lo
; %bb.18:                               ;   in Loop: Header=BB1_6 Depth=2
	v_bfe_u32 v4, v9, 16, 11
	v_bfe_u32 v10, v8, 16, 11
	s_andn2_b32 s34, s34, exec_lo
	v_cmp_lt_u32_e32 vcc_lo, v4, v10
	s_and_b32 s35, vcc_lo, exec_lo
	s_or_b32 s34, s34, s35
; %bb.19:                               ;   in Loop: Header=BB1_6 Depth=2
	s_or_b32 exec_lo, exec_lo, s4
	v_mov_b32_e32 v4, 0
	s_and_saveexec_b32 s4, s34
; %bb.20:                               ;   in Loop: Header=BB1_6 Depth=2
	v_mov_b32_e32 v4, 1
; %bb.21:                               ;   in Loop: Header=BB1_6 Depth=2
	s_or_b32 exec_lo, exec_lo, s4
.LBB1_22:                               ;   in Loop: Header=BB1_6 Depth=2
	s_or_b32 exec_lo, exec_lo, s33
	global_load_dword v10, v[12:13], off offset:76
	s_mov_b32 s4, exec_lo
	s_waitcnt vmcnt(0)
	v_and_b32_e32 v41, 0x78000000, v10
	v_cmpx_lt_u32_e32 0x10000000, v41
	s_cbranch_execz .LBB1_28
; %bb.23:                               ;   in Loop: Header=BB1_6 Depth=2
	v_cmp_eq_u32_e64 s33, -1, v4
	s_mov_b32 s34, exec_lo
	v_cmpx_ne_u32_e32 -1, v4
	s_cbranch_execz .LBB1_25
; %bb.24:                               ;   in Loop: Header=BB1_6 Depth=2
	v_mad_i64_i32 v[22:23], null, v4, 28, v[12:13]
	s_andn2_b32 s33, s33, exec_lo
	global_load_dword v11, v[22:23], off offset:20
	v_bfe_u32 v22, v10, 16, 11
	s_waitcnt vmcnt(0)
	v_bfe_u32 v11, v11, 16, 11
	v_cmp_lt_u32_e32 vcc_lo, v22, v11
	s_and_b32 s35, vcc_lo, exec_lo
	s_or_b32 s33, s33, s35
.LBB1_25:                               ;   in Loop: Header=BB1_6 Depth=2
	s_or_b32 exec_lo, exec_lo, s34
	s_and_saveexec_b32 s34, s33
; %bb.26:                               ;   in Loop: Header=BB1_6 Depth=2
	v_mov_b32_e32 v4, 2
; %bb.27:                               ;   in Loop: Header=BB1_6 Depth=2
	s_or_b32 exec_lo, exec_lo, s34
.LBB1_28:                               ;   in Loop: Header=BB1_6 Depth=2
	s_or_b32 exec_lo, exec_lo, s4
	global_load_dword v11, v[12:13], off offset:104
	s_mov_b32 s4, exec_lo
	s_waitcnt vmcnt(0)
	v_and_b32_e32 v42, 0x78000000, v11
	v_cmpx_lt_u32_e32 0x10000000, v42
	s_cbranch_execz .LBB1_34
; %bb.29:                               ;   in Loop: Header=BB1_6 Depth=2
	v_cmp_eq_u32_e64 s33, -1, v4
	s_mov_b32 s34, exec_lo
	v_cmpx_ne_u32_e32 -1, v4
	s_cbranch_execz .LBB1_31
; %bb.30:                               ;   in Loop: Header=BB1_6 Depth=2
	v_mad_i64_i32 v[22:23], null, v4, 28, v[12:13]
	s_andn2_b32 s33, s33, exec_lo
	global_load_dword v22, v[22:23], off offset:20
	v_bfe_u32 v23, v11, 16, 11
	s_waitcnt vmcnt(0)
	v_bfe_u32 v22, v22, 16, 11
	v_cmp_lt_u32_e32 vcc_lo, v23, v22
	s_and_b32 s35, vcc_lo, exec_lo
	s_or_b32 s33, s33, s35
.LBB1_31:                               ;   in Loop: Header=BB1_6 Depth=2
	s_or_b32 exec_lo, exec_lo, s34
	s_and_saveexec_b32 s34, s33
; %bb.32:                               ;   in Loop: Header=BB1_6 Depth=2
	v_mov_b32_e32 v4, 3
; %bb.33:                               ;   in Loop: Header=BB1_6 Depth=2
	s_or_b32 exec_lo, exec_lo, s34
.LBB1_34:                               ;   in Loop: Header=BB1_6 Depth=2
	;; [unrolled: 30-line block ×6, first 2 shown]
	s_or_b32 exec_lo, exec_lo, s4
	s_mov_b32 s33, exec_lo
	v_cmpx_eq_u32_e32 -1, v4
	s_cbranch_execz .LBB1_102
; %bb.59:                               ;   in Loop: Header=BB1_6 Depth=2
	v_cmp_ne_u32_e64 s35, 0x10000000, v40
	s_mov_b32 s34, exec_lo
	v_cmp_eq_u32_e32 vcc_lo, 0x10000000, v40
	v_cndmask_b32_e64 v4, 0, -1, s35
	v_cmpx_eq_u32_e32 0x10000000, v39
	s_cbranch_execz .LBB1_65
; %bb.60:                               ;   in Loop: Header=BB1_6 Depth=2
	s_and_saveexec_b32 s4, vcc_lo
; %bb.61:                               ;   in Loop: Header=BB1_6 Depth=2
	v_bfe_u32 v4, v9, 16, 11
	v_bfe_u32 v39, v8, 16, 11
	s_andn2_b32 s35, s35, exec_lo
	v_cmp_lt_u32_e32 vcc_lo, v4, v39
	s_and_b32 s36, vcc_lo, exec_lo
	s_or_b32 s35, s35, s36
; %bb.62:                               ;   in Loop: Header=BB1_6 Depth=2
	s_or_b32 exec_lo, exec_lo, s4
	v_mov_b32_e32 v4, 0
	s_and_saveexec_b32 s4, s35
; %bb.63:                               ;   in Loop: Header=BB1_6 Depth=2
	v_mov_b32_e32 v4, 1
; %bb.64:                               ;   in Loop: Header=BB1_6 Depth=2
	s_or_b32 exec_lo, exec_lo, s4
.LBB1_65:                               ;   in Loop: Header=BB1_6 Depth=2
	s_or_b32 exec_lo, exec_lo, s34
	s_mov_b32 s4, exec_lo
	v_cmpx_eq_u32_e32 0x10000000, v41
	s_cbranch_execz .LBB1_71
; %bb.66:                               ;   in Loop: Header=BB1_6 Depth=2
	v_cmp_eq_u32_e64 s34, -1, v4
	s_mov_b32 s35, exec_lo
	v_cmpx_ne_u32_e32 -1, v4
	s_cbranch_execz .LBB1_68
; %bb.67:                               ;   in Loop: Header=BB1_6 Depth=2
	v_mad_i64_i32 v[39:40], null, v4, 28, v[12:13]
	s_andn2_b32 s34, s34, exec_lo
	global_load_dword v39, v[39:40], off offset:20
	v_bfe_u32 v40, v10, 16, 11
	s_waitcnt vmcnt(0)
	v_bfe_u32 v39, v39, 16, 11
	v_cmp_lt_u32_e32 vcc_lo, v40, v39
	s_and_b32 s36, vcc_lo, exec_lo
	s_or_b32 s34, s34, s36
.LBB1_68:                               ;   in Loop: Header=BB1_6 Depth=2
	s_or_b32 exec_lo, exec_lo, s35
	s_and_saveexec_b32 s35, s34
; %bb.69:                               ;   in Loop: Header=BB1_6 Depth=2
	v_mov_b32_e32 v4, 2
; %bb.70:                               ;   in Loop: Header=BB1_6 Depth=2
	s_or_b32 exec_lo, exec_lo, s35
.LBB1_71:                               ;   in Loop: Header=BB1_6 Depth=2
	s_or_b32 exec_lo, exec_lo, s4
	s_mov_b32 s4, exec_lo
	v_cmpx_eq_u32_e32 0x10000000, v42
	s_cbranch_execz .LBB1_77
; %bb.72:                               ;   in Loop: Header=BB1_6 Depth=2
	v_cmp_eq_u32_e64 s34, -1, v4
	s_mov_b32 s35, exec_lo
	v_cmpx_ne_u32_e32 -1, v4
	s_cbranch_execz .LBB1_74
; %bb.73:                               ;   in Loop: Header=BB1_6 Depth=2
	v_mad_i64_i32 v[39:40], null, v4, 28, v[12:13]
	s_andn2_b32 s34, s34, exec_lo
	global_load_dword v39, v[39:40], off offset:20
	v_bfe_u32 v40, v11, 16, 11
	s_waitcnt vmcnt(0)
	v_bfe_u32 v39, v39, 16, 11
	v_cmp_lt_u32_e32 vcc_lo, v40, v39
	s_and_b32 s36, vcc_lo, exec_lo
	s_or_b32 s34, s34, s36
.LBB1_74:                               ;   in Loop: Header=BB1_6 Depth=2
	s_or_b32 exec_lo, exec_lo, s35
	s_and_saveexec_b32 s35, s34
; %bb.75:                               ;   in Loop: Header=BB1_6 Depth=2
	v_mov_b32_e32 v4, 3
; %bb.76:                               ;   in Loop: Header=BB1_6 Depth=2
	s_or_b32 exec_lo, exec_lo, s35
.LBB1_77:                               ;   in Loop: Header=BB1_6 Depth=2
	s_or_b32 exec_lo, exec_lo, s4
	s_mov_b32 s4, exec_lo
	v_cmpx_eq_u32_e32 0x10000000, v43
	s_cbranch_execz .LBB1_83
; %bb.78:                               ;   in Loop: Header=BB1_6 Depth=2
	v_cmp_eq_u32_e64 s34, -1, v4
	s_mov_b32 s35, exec_lo
	v_cmpx_ne_u32_e32 -1, v4
	s_cbranch_execz .LBB1_80
; %bb.79:                               ;   in Loop: Header=BB1_6 Depth=2
	v_mad_i64_i32 v[39:40], null, v4, 28, v[12:13]
	s_andn2_b32 s34, s34, exec_lo
	global_load_dword v39, v[39:40], off offset:20
	v_bfe_u32 v40, v22, 16, 11
	s_waitcnt vmcnt(0)
	v_bfe_u32 v39, v39, 16, 11
	v_cmp_lt_u32_e32 vcc_lo, v40, v39
	s_and_b32 s36, vcc_lo, exec_lo
	s_or_b32 s34, s34, s36
.LBB1_80:                               ;   in Loop: Header=BB1_6 Depth=2
	s_or_b32 exec_lo, exec_lo, s35
	s_and_saveexec_b32 s35, s34
; %bb.81:                               ;   in Loop: Header=BB1_6 Depth=2
	v_mov_b32_e32 v4, 4
; %bb.82:                               ;   in Loop: Header=BB1_6 Depth=2
	s_or_b32 exec_lo, exec_lo, s35
.LBB1_83:                               ;   in Loop: Header=BB1_6 Depth=2
	s_or_b32 exec_lo, exec_lo, s4
	s_mov_b32 s4, exec_lo
	v_cmpx_eq_u32_e32 0x10000000, v44
	s_cbranch_execz .LBB1_89
; %bb.84:                               ;   in Loop: Header=BB1_6 Depth=2
	v_cmp_eq_u32_e64 s34, -1, v4
	s_mov_b32 s35, exec_lo
	v_cmpx_ne_u32_e32 -1, v4
	s_cbranch_execz .LBB1_86
; %bb.85:                               ;   in Loop: Header=BB1_6 Depth=2
	v_mad_i64_i32 v[39:40], null, v4, 28, v[12:13]
	s_andn2_b32 s34, s34, exec_lo
	global_load_dword v39, v[39:40], off offset:20
	v_bfe_u32 v40, v23, 16, 11
	s_waitcnt vmcnt(0)
	v_bfe_u32 v39, v39, 16, 11
	v_cmp_lt_u32_e32 vcc_lo, v40, v39
	s_and_b32 s36, vcc_lo, exec_lo
	s_or_b32 s34, s34, s36
.LBB1_86:                               ;   in Loop: Header=BB1_6 Depth=2
	s_or_b32 exec_lo, exec_lo, s35
	s_and_saveexec_b32 s35, s34
; %bb.87:                               ;   in Loop: Header=BB1_6 Depth=2
	v_mov_b32_e32 v4, 5
; %bb.88:                               ;   in Loop: Header=BB1_6 Depth=2
	s_or_b32 exec_lo, exec_lo, s35
.LBB1_89:                               ;   in Loop: Header=BB1_6 Depth=2
	s_or_b32 exec_lo, exec_lo, s4
	s_mov_b32 s4, exec_lo
	v_cmpx_eq_u32_e32 0x10000000, v45
	s_cbranch_execz .LBB1_95
; %bb.90:                               ;   in Loop: Header=BB1_6 Depth=2
	v_cmp_eq_u32_e64 s34, -1, v4
	s_mov_b32 s35, exec_lo
	v_cmpx_ne_u32_e32 -1, v4
	s_cbranch_execz .LBB1_92
; %bb.91:                               ;   in Loop: Header=BB1_6 Depth=2
	v_mad_i64_i32 v[39:40], null, v4, 28, v[12:13]
	s_andn2_b32 s34, s34, exec_lo
	global_load_dword v39, v[39:40], off offset:20
	v_bfe_u32 v40, v37, 16, 11
	s_waitcnt vmcnt(0)
	v_bfe_u32 v39, v39, 16, 11
	v_cmp_lt_u32_e32 vcc_lo, v40, v39
	s_and_b32 s36, vcc_lo, exec_lo
	s_or_b32 s34, s34, s36
.LBB1_92:                               ;   in Loop: Header=BB1_6 Depth=2
	s_or_b32 exec_lo, exec_lo, s35
	s_and_saveexec_b32 s35, s34
; %bb.93:                               ;   in Loop: Header=BB1_6 Depth=2
	v_mov_b32_e32 v4, 6
; %bb.94:                               ;   in Loop: Header=BB1_6 Depth=2
	s_or_b32 exec_lo, exec_lo, s35
.LBB1_95:                               ;   in Loop: Header=BB1_6 Depth=2
	s_or_b32 exec_lo, exec_lo, s4
	s_mov_b32 s4, exec_lo
	v_cmpx_eq_u32_e32 0x10000000, v46
	s_cbranch_execz .LBB1_101
; %bb.96:                               ;   in Loop: Header=BB1_6 Depth=2
	v_cmp_eq_u32_e64 s34, -1, v4
	s_mov_b32 s35, exec_lo
	v_cmpx_ne_u32_e32 -1, v4
	s_cbranch_execz .LBB1_98
; %bb.97:                               ;   in Loop: Header=BB1_6 Depth=2
	v_mad_i64_i32 v[39:40], null, v4, 28, v[12:13]
	s_andn2_b32 s34, s34, exec_lo
	global_load_dword v39, v[39:40], off offset:20
	v_bfe_u32 v40, v38, 16, 11
	s_waitcnt vmcnt(0)
	v_bfe_u32 v39, v39, 16, 11
	v_cmp_lt_u32_e32 vcc_lo, v40, v39
	s_and_b32 s36, vcc_lo, exec_lo
	s_or_b32 s34, s34, s36
.LBB1_98:                               ;   in Loop: Header=BB1_6 Depth=2
	s_or_b32 exec_lo, exec_lo, s35
	s_and_saveexec_b32 s35, s34
; %bb.99:                               ;   in Loop: Header=BB1_6 Depth=2
	v_mov_b32_e32 v4, 7
; %bb.100:                              ;   in Loop: Header=BB1_6 Depth=2
	s_or_b32 exec_lo, exec_lo, s35
.LBB1_101:                              ;   in Loop: Header=BB1_6 Depth=2
	s_or_b32 exec_lo, exec_lo, s4
.LBB1_102:                              ;   in Loop: Header=BB1_6 Depth=2
	s_or_b32 exec_lo, exec_lo, s33
	s_mov_b32 s33, exec_lo
	v_cmpx_eq_u32_e32 -1, v4
	s_cbranch_execz .LBB1_146
; %bb.103:                              ;   in Loop: Header=BB1_6 Depth=2
	v_and_b32_e32 v4, 0x70000000, v8
	v_and_b32_e32 v39, 0x70000000, v9
	s_mov_b32 s34, exec_lo
	v_cmp_ne_u32_e64 s35, 0, v4
	v_cmp_eq_u32_e32 vcc_lo, 0, v4
	v_cndmask_b32_e64 v4, 0, -1, s35
	v_cmpx_eq_u32_e32 0, v39
	s_cbranch_execz .LBB1_109
; %bb.104:                              ;   in Loop: Header=BB1_6 Depth=2
	s_and_saveexec_b32 s4, vcc_lo
; %bb.105:                              ;   in Loop: Header=BB1_6 Depth=2
	v_bfe_u32 v4, v9, 16, 11
	v_bfe_u32 v8, v8, 16, 11
	s_andn2_b32 s35, s35, exec_lo
	v_cmp_lt_u32_e32 vcc_lo, v4, v8
	s_and_b32 s36, vcc_lo, exec_lo
	s_or_b32 s35, s35, s36
; %bb.106:                              ;   in Loop: Header=BB1_6 Depth=2
	s_or_b32 exec_lo, exec_lo, s4
	v_mov_b32_e32 v4, 0
	s_and_saveexec_b32 s4, s35
; %bb.107:                              ;   in Loop: Header=BB1_6 Depth=2
	v_mov_b32_e32 v4, 1
; %bb.108:                              ;   in Loop: Header=BB1_6 Depth=2
	s_or_b32 exec_lo, exec_lo, s4
.LBB1_109:                              ;   in Loop: Header=BB1_6 Depth=2
	s_or_b32 exec_lo, exec_lo, s34
	v_and_b32_e32 v8, 0x70000000, v10
	s_mov_b32 s4, exec_lo
	v_cmpx_eq_u32_e32 0, v8
	s_cbranch_execz .LBB1_115
; %bb.110:                              ;   in Loop: Header=BB1_6 Depth=2
	v_cmp_eq_u32_e64 s34, -1, v4
	s_mov_b32 s35, exec_lo
	v_cmpx_ne_u32_e32 -1, v4
	s_cbranch_execz .LBB1_112
; %bb.111:                              ;   in Loop: Header=BB1_6 Depth=2
	v_mad_i64_i32 v[8:9], null, v4, 28, v[12:13]
	s_andn2_b32 s34, s34, exec_lo
	global_load_dword v8, v[8:9], off offset:20
	v_bfe_u32 v9, v10, 16, 11
	s_waitcnt vmcnt(0)
	v_bfe_u32 v8, v8, 16, 11
	v_cmp_lt_u32_e32 vcc_lo, v9, v8
	s_and_b32 s36, vcc_lo, exec_lo
	s_or_b32 s34, s34, s36
.LBB1_112:                              ;   in Loop: Header=BB1_6 Depth=2
	s_or_b32 exec_lo, exec_lo, s35
	s_and_saveexec_b32 s35, s34
; %bb.113:                              ;   in Loop: Header=BB1_6 Depth=2
	v_mov_b32_e32 v4, 2
; %bb.114:                              ;   in Loop: Header=BB1_6 Depth=2
	s_or_b32 exec_lo, exec_lo, s35
.LBB1_115:                              ;   in Loop: Header=BB1_6 Depth=2
	s_or_b32 exec_lo, exec_lo, s4
	v_and_b32_e32 v8, 0x70000000, v11
	s_mov_b32 s4, exec_lo
	v_cmpx_eq_u32_e32 0, v8
	s_cbranch_execz .LBB1_121
; %bb.116:                              ;   in Loop: Header=BB1_6 Depth=2
	v_cmp_eq_u32_e64 s34, -1, v4
	s_mov_b32 s35, exec_lo
	v_cmpx_ne_u32_e32 -1, v4
	s_cbranch_execz .LBB1_118
; %bb.117:                              ;   in Loop: Header=BB1_6 Depth=2
	v_mad_i64_i32 v[8:9], null, v4, 28, v[12:13]
	s_andn2_b32 s34, s34, exec_lo
	global_load_dword v8, v[8:9], off offset:20
	v_bfe_u32 v9, v11, 16, 11
	s_waitcnt vmcnt(0)
	v_bfe_u32 v8, v8, 16, 11
	v_cmp_lt_u32_e32 vcc_lo, v9, v8
	s_and_b32 s36, vcc_lo, exec_lo
	s_or_b32 s34, s34, s36
.LBB1_118:                              ;   in Loop: Header=BB1_6 Depth=2
	s_or_b32 exec_lo, exec_lo, s35
	s_and_saveexec_b32 s35, s34
; %bb.119:                              ;   in Loop: Header=BB1_6 Depth=2
	v_mov_b32_e32 v4, 3
; %bb.120:                              ;   in Loop: Header=BB1_6 Depth=2
	s_or_b32 exec_lo, exec_lo, s35
.LBB1_121:                              ;   in Loop: Header=BB1_6 Depth=2
	;; [unrolled: 28-line block ×6, first 2 shown]
	s_or_b32 exec_lo, exec_lo, s4
.LBB1_146:                              ;   in Loop: Header=BB1_6 Depth=2
	s_or_b32 exec_lo, exec_lo, s33
	v_mad_i64_i32 v[8:9], null, v4, 28, v[12:13]
	global_store_byte v[8:9], v35, off offset:24
.LBB1_147:                              ;   in Loop: Header=BB1_6 Depth=2
	s_or_b32 exec_lo, exec_lo, s31
.LBB1_148:                              ;   in Loop: Header=BB1_6 Depth=2
	s_or_b32 exec_lo, exec_lo, s30
.LBB1_149:                              ;   in Loop: Header=BB1_6 Depth=2
	s_or_b32 exec_lo, exec_lo, s29
.LBB1_150:                              ;   in Loop: Header=BB1_6 Depth=2
	s_or_b32 exec_lo, exec_lo, s28
.LBB1_151:                              ;   in Loop: Header=BB1_6 Depth=2
	s_or_b32 exec_lo, exec_lo, s27
.LBB1_152:                              ;   in Loop: Header=BB1_6 Depth=2
	s_or_b32 exec_lo, exec_lo, s7
.LBB1_153:                              ;   in Loop: Header=BB1_6 Depth=2
	s_or_b32 exec_lo, exec_lo, s6
.LBB1_154:                              ;   in Loop: Header=BB1_6 Depth=2
	s_or_b32 exec_lo, exec_lo, s5
	v_mad_i64_i32 v[22:23], null, v4, 28, v[12:13]
	v_bfe_u32 v38, v27, 27, 4
	v_bfe_u32 v37, v25, 27, 4
	s_mov_b32 s7, 0
                                        ; implicit-def: $vgpr39
	s_mov_b32 s4, exec_lo
	v_cmpx_ge_u32_e64 v38, v37
	s_xor_b32 s5, exec_lo, s4
	s_cbranch_execz .LBB1_164
; %bb.155:                              ;   in Loop: Header=BB1_6 Depth=2
	ds_read_u16 v8, v29
	ds_read_u8 v9, v29 offset:2
	s_mov_b32 s6, 0
	s_mov_b32 s4, 0
	s_mov_b32 s7, exec_lo
	ds_write2_b32 v30, v5, v6 offset0:1 offset1:2
	ds_write2_b32 v30, v7, v26 offset0:3 offset1:4
	ds_write_b32 v30, v27 offset:20
	s_waitcnt vmcnt(0)
	ds_write_b8 v30, v36 offset:24
	ds_write2_b32 v31, v1, v2 offset0:1 offset1:2
	ds_write2_b32 v31, v3, v24 offset0:3 offset1:4
	ds_write_b32 v31, v25 offset:20
                                        ; implicit-def: $vgpr10
	s_waitcnt lgkmcnt(8)
	ds_write_b16 v32, v8
	s_waitcnt lgkmcnt(8)
	ds_write_b8 v32, v9 offset:2
	ds_write_b8 v31, v28 offset:24
                                        ; implicit-def: $vgpr8
                                        ; implicit-def: $vgpr9
	v_cmpx_ne_u32_e32 0, v37
	s_xor_b32 s7, exec_lo, s7
	s_cbranch_execz .LBB1_224
; %bb.156:                              ;   in Loop: Header=BB1_6 Depth=2
	v_mov_b32_e32 v9, 1
	v_mov_b32_e32 v8, 0
	;; [unrolled: 1-line block ×3, first 2 shown]
	s_mov_b32 s4, exec_lo
	v_cmpx_ge_i32_e64 v5, v1
; %bb.157:                              ;   in Loop: Header=BB1_6 Depth=2
	v_cmp_le_i32_e32 vcc_lo, v5, v1
	v_mov_b32_e32 v8, 1
	v_mov_b32_e32 v10, v1
	v_cndmask_b32_e64 v9, 0, 1, vcc_lo
; %bb.158:                              ;   in Loop: Header=BB1_6 Depth=2
	s_or_b32 exec_lo, exec_lo, s4
	s_mov_b32 s4, exec_lo
	s_andn2_saveexec_b32 s7, s7
	s_cbranch_execnz .LBB1_225
.LBB1_159:                              ;   in Loop: Header=BB1_6 Depth=2
	s_or_b32 exec_lo, exec_lo, s7
	v_mov_b32_e32 v11, 0
	s_and_saveexec_b32 s7, s4
	s_cbranch_execnz .LBB1_226
.LBB1_160:                              ;   in Loop: Header=BB1_6 Depth=2
	s_or_b32 exec_lo, exec_lo, s7
	s_mov_b32 s4, 0
                                        ; implicit-def: $vgpr39
	s_and_saveexec_b32 s7, s6
	s_cbranch_execz .LBB1_162
.LBB1_161:                              ;   in Loop: Header=BB1_6 Depth=2
	global_load_dword v8, v[22:23], off offset:20
	s_mov_b32 s4, exec_lo
	s_waitcnt vmcnt(0)
	v_and_or_b32 v39, 0x87ffffff, v8, v11
	global_store_dword v[22:23], v39, off offset:20
.LBB1_162:                              ;   in Loop: Header=BB1_6 Depth=2
	s_or_b32 exec_lo, exec_lo, s7
	s_and_b32 s7, s4, exec_lo
	s_andn2_saveexec_b32 s27, s5
	s_cbranch_execnz .LBB1_165
.LBB1_163:                              ;   in Loop: Header=BB1_6 Depth=2
	s_or_b32 exec_lo, exec_lo, s27
	v_mov_b32_e32 v8, 7
	s_and_saveexec_b32 s27, s7
	s_cbranch_execnz .LBB1_183
	s_branch .LBB1_495
.LBB1_164:                              ;   in Loop: Header=BB1_6 Depth=2
	s_andn2_saveexec_b32 s27, s5
	s_cbranch_execz .LBB1_163
.LBB1_165:                              ;   in Loop: Header=BB1_6 Depth=2
	v_cmp_eq_u32_e32 vcc_lo, 0, v38
	v_cmp_lt_i32_e64 s4, v1, v5
	v_cmp_le_i32_e64 s6, v1, v5
	s_mov_b32 s28, 0
	s_mov_b32 s30, 0
	s_mov_b32 s29, exec_lo
	s_or_b32 s5, vcc_lo, s4
	buffer_store_dword v1, off, s[0:3], 0 offset:284
	buffer_store_dword v2, off, s[0:3], 0 offset:288
	;; [unrolled: 1-line block ×5, first 2 shown]
	s_or_b32 vcc_lo, s5, s6
	s_xor_b32 s4, s5, -1
	v_cndmask_b32_e64 v9, 0, 1, vcc_lo
	v_cndmask_b32_e64 v10, v5, v1, s5
	v_cndmask_b32_e64 v8, 0, 1, s4
	buffer_store_byte v28, off, s[0:3], 0 offset:304
	buffer_store_dword v5, off, s[0:3], 0 offset:312
	buffer_store_dword v6, off, s[0:3], 0 offset:316
	;; [unrolled: 1-line block ×5, first 2 shown]
	v_cmp_ne_u32_e64 s4, v37, v9
	s_waitcnt vmcnt(0)
	buffer_store_byte v36, off, s[0:3], 0 offset:332
	global_store_dword v[22:23], v10, off offset:4
	v_cmpx_ne_u32_e64 v38, v8
	s_xor_b32 s29, exec_lo, s29
	s_cbranch_execz .LBB1_241
; %bb.166:                              ;   in Loop: Header=BB1_6 Depth=2
	v_cndmask_b32_e64 v10, v6, v5, s5
	s_and_saveexec_b32 s6, s4
	s_xor_b32 s30, exec_lo, s6
	s_cbranch_execz .LBB1_176
; %bb.167:                              ;   in Loop: Header=BB1_6 Depth=2
	v_cndmask_b32_e32 v11, v1, v2, vcc_lo
	s_mov_b32 s31, exec_lo
	v_cmpx_ge_i32_e64 v11, v10
	s_xor_b32 s31, exec_lo, s31
	s_cbranch_execz .LBB1_173
; %bb.168:                              ;   in Loop: Header=BB1_6 Depth=2
	v_cmp_le_i32_e64 s6, v11, v10
                                        ; implicit-def: $vgpr8
	s_and_saveexec_b32 s33, s6
	s_xor_b32 s6, exec_lo, s33
	s_cbranch_execz .LBB1_170
; %bb.169:                              ;   in Loop: Header=BB1_6 Depth=2
	v_cndmask_b32_e64 v9, 1, 2, vcc_lo
	v_cndmask_b32_e64 v8, 2, 1, s5
	global_store_dword v[22:23], v11, off offset:8
                                        ; implicit-def: $vgpr10
.LBB1_170:                              ;   in Loop: Header=BB1_6 Depth=2
	s_andn2_saveexec_b32 s6, s6
	s_cbranch_execz .LBB1_172
; %bb.171:                              ;   in Loop: Header=BB1_6 Depth=2
	v_cndmask_b32_e64 v8, 2, 1, s5
	global_store_dword v[22:23], v10, off offset:8
.LBB1_172:                              ;   in Loop: Header=BB1_6 Depth=2
	s_or_b32 exec_lo, exec_lo, s6
                                        ; implicit-def: $vgpr11
.LBB1_173:                              ;   in Loop: Header=BB1_6 Depth=2
	s_andn2_saveexec_b32 s6, s31
	s_cbranch_execz .LBB1_175
; %bb.174:                              ;   in Loop: Header=BB1_6 Depth=2
	v_cndmask_b32_e64 v9, 1, 2, vcc_lo
	global_store_dword v[22:23], v11, off offset:8
.LBB1_175:                              ;   in Loop: Header=BB1_6 Depth=2
	s_or_b32 exec_lo, exec_lo, s6
                                        ; implicit-def: $vgpr10
.LBB1_176:                              ;   in Loop: Header=BB1_6 Depth=2
	s_andn2_saveexec_b32 s6, s30
	s_cbranch_execz .LBB1_178
; %bb.177:                              ;   in Loop: Header=BB1_6 Depth=2
	v_mov_b32_e32 v9, 1
	v_cndmask_b32_e64 v8, 2, 1, s5
	global_store_dword v[22:23], v10, off offset:8
.LBB1_178:                              ;   in Loop: Header=BB1_6 Depth=2
	s_or_b32 exec_lo, exec_lo, s6
	s_mov_b32 s30, exec_lo
	s_andn2_saveexec_b32 s5, s29
	s_cbranch_execnz .LBB1_242
.LBB1_179:                              ;   in Loop: Header=BB1_6 Depth=2
	s_or_b32 exec_lo, exec_lo, s5
	v_bfrev_b32_e32 v11, 16
	s_and_saveexec_b32 s5, s30
	s_cbranch_execnz .LBB1_245
.LBB1_180:                              ;   in Loop: Header=BB1_6 Depth=2
	s_or_b32 exec_lo, exec_lo, s5
	s_mov_b32 s4, s7
                                        ; implicit-def: $vgpr39
	s_and_saveexec_b32 s5, s28
	s_cbranch_execz .LBB1_182
.LBB1_181:                              ;   in Loop: Header=BB1_6 Depth=2
	global_load_dword v8, v[22:23], off offset:20
	s_or_b32 s4, s7, exec_lo
	s_waitcnt vmcnt(0)
	v_and_or_b32 v39, 0x87ffffff, v8, v11
	global_store_dword v[22:23], v39, off offset:20
.LBB1_182:                              ;   in Loop: Header=BB1_6 Depth=2
	s_or_b32 exec_lo, exec_lo, s5
	s_andn2_b32 s5, s7, exec_lo
	s_and_b32 s4, s4, exec_lo
	s_or_b32 s7, s5, s4
	s_or_b32 exec_lo, exec_lo, s27
	v_mov_b32_e32 v8, 7
	s_and_saveexec_b32 s27, s7
	s_cbranch_execz .LBB1_495
.LBB1_183:                              ;   in Loop: Header=BB1_6 Depth=2
	v_bfe_u32 v40, v39, 27, 4
	s_mov_b32 s7, 0
	s_mov_b32 s28, 0
	global_store_dword v[22:23], v0, off
	global_store_byte v[22:23], v28, off offset:24
	v_cmp_ne_u32_e32 vcc_lo, 0, v40
                                        ; implicit-def: $sgpr29
                                        ; implicit-def: $sgpr30
	s_branch .LBB1_185
.LBB1_184:                              ;   in Loop: Header=BB1_185 Depth=3
	s_or_b32 exec_lo, exec_lo, s6
	s_and_b32 s4, exec_lo, s5
	s_or_b32 s7, s4, s7
	s_andn2_b32 s4, s29, exec_lo
	s_and_b32 s5, s30, exec_lo
	s_or_b32 s29, s4, s5
	s_andn2_b32 exec_lo, exec_lo, s7
	s_cbranch_execz .LBB1_260
.LBB1_185:                              ;   Parent Loop BB1_3 Depth=1
                                        ;     Parent Loop BB1_6 Depth=2
                                        ; =>    This Loop Header: Depth=3
                                        ;         Child Loop BB1_193 Depth 4
                                        ;           Child Loop BB1_194 Depth 5
                                        ;         Child Loop BB1_209 Depth 4
                                        ;           Child Loop BB1_210 Depth 5
	v_cmp_eq_u32_e64 s4, s28, v4
	s_mov_b32 s31, exec_lo
	v_cmpx_ne_u32_e64 s28, v4
	s_cbranch_execz .LBB1_222
; %bb.186:                              ;   in Loop: Header=BB1_185 Depth=3
	v_mad_u64_u32 v[8:9], null, s28, 28, v[12:13]
	s_mov_b32 s6, -1
	s_mov_b32 s33, exec_lo
	global_load_ubyte v10, v[8:9], off offset:24
	s_waitcnt vmcnt(0)
	v_and_b32_e32 v10, 1, v10
	v_cmpx_eq_u32_e32 1, v10
	s_cbranch_execz .LBB1_221
; %bb.187:                              ;   in Loop: Header=BB1_185 Depth=3
	s_clause 0x1
	global_load_dword v11, v[8:9], off offset:20
	global_load_dword v42, v[8:9], off
	s_mov_b32 s34, 0
	s_mov_b32 s6, exec_lo
	s_waitcnt vmcnt(1)
	v_bfe_u32 v10, v11, 27, 4
	s_waitcnt vmcnt(0)
	v_and_b32_e32 v41, v0, v42
	v_cmpx_le_u32_e64 v10, v40
	s_xor_b32 s35, exec_lo, s6
	s_cbranch_execz .LBB1_203
; %bb.188:                              ;   in Loop: Header=BB1_185 Depth=3
	s_mov_b32 s6, -1
	s_mov_b32 s34, exec_lo
	v_cmpx_eq_u32_e64 v41, v42
	s_cbranch_execz .LBB1_202
; %bb.189:                              ;   in Loop: Header=BB1_185 Depth=3
	s_clause 0x2
	global_load_dwordx4 v[41:44], v[22:23], off
	global_load_dwordx4 v[45:48], v[22:23], off offset:12
	global_load_dwordx4 v[49:52], v[8:9], off offset:4
	s_mov_b32 s6, 0
	s_mov_b32 s36, exec_lo
	buffer_store_dword v11, off, s[0:3], 0 offset:188
	s_waitcnt vmcnt(2)
	buffer_store_dword v44, off, s[0:3], 0 offset:208
	buffer_store_dword v43, off, s[0:3], 0 offset:204
	buffer_store_dword v42, off, s[0:3], 0 offset:200
	buffer_store_dword v41, off, s[0:3], 0 offset:196
	s_waitcnt vmcnt(1)
	buffer_store_dword v48, off, s[0:3], 0 offset:220
	buffer_store_dword v47, off, s[0:3], 0 offset:216
	buffer_store_dword v46, off, s[0:3], 0 offset:212
	;; [unrolled: 5-line block ×3, first 2 shown]
	buffer_store_dword v52, off, s[0:3], 0 offset:184
	buffer_store_byte v28, off, s[0:3], 0 offset:192
	v_cmpx_ne_u32_e32 0, v10
	s_cbranch_execz .LBB1_201
; %bb.190:                              ;   in Loop: Header=BB1_185 Depth=3
	buffer_load_dword v8, off, s[0:3], 0 offset:216
	s_mov_b32 s6, -1
	s_mov_b32 s37, exec_lo
	s_waitcnt vmcnt(0)
	v_bfe_u32 v8, v8, 27, 4
	v_cmpx_ne_u32_e32 0, v8
	s_cbranch_execz .LBB1_198
; %bb.191:                              ;   in Loop: Header=BB1_185 Depth=3
	s_mov_b32 s38, 0
	s_mov_b32 s39, 0
                                        ; implicit-def: $sgpr40
                                        ; implicit-def: $sgpr41
	s_inst_prefetch 0x1
	s_branch .LBB1_193
	.p2align	6
.LBB1_192:                              ;   in Loop: Header=BB1_193 Depth=4
	s_or_b32 exec_lo, exec_lo, s42
	s_and_b32 s5, exec_lo, s6
	s_or_b32 s38, s5, s38
	s_andn2_b32 s5, s40, exec_lo
	s_and_b32 s6, s41, exec_lo
	s_or_b32 s40, s5, s6
	s_andn2_b32 exec_lo, exec_lo, s38
	s_cbranch_execz .LBB1_197
.LBB1_193:                              ;   Parent Loop BB1_3 Depth=1
                                        ;     Parent Loop BB1_6 Depth=2
                                        ;       Parent Loop BB1_185 Depth=3
                                        ; =>      This Loop Header: Depth=4
                                        ;           Child Loop BB1_194 Depth 5
	s_lshl_b32 s5, s39, 2
	v_mov_b32_e32 v41, v8
	v_add_nc_u32_e64 v9, 0xa8, s5
	s_mov_b32 s42, 0
	s_mov_b32 s43, s10
	buffer_load_dword v11, v9, s[0:3], 0 offen offset:4
	v_mov_b32_e32 v9, 0
.LBB1_194:                              ;   Parent Loop BB1_3 Depth=1
                                        ;     Parent Loop BB1_6 Depth=2
                                        ;       Parent Loop BB1_185 Depth=3
                                        ;         Parent Loop BB1_193 Depth=4
                                        ; =>        This Inner Loop Header: Depth=5
	v_mov_b32_e32 v42, s43
	v_add_nc_u32_e32 v41, -1, v41
	s_add_i32 s43, s43, 4
	buffer_load_dword v42, v42, s[0:3], 0 offen
	v_cmp_eq_u32_e64 s5, 0, v41
	s_or_b32 s42, s5, s42
	s_waitcnt vmcnt(0)
	v_cmp_ne_u32_e64 s6, v42, v11
	v_cndmask_b32_e64 v9, 1, v9, s6
	s_andn2_b32 exec_lo, exec_lo, s42
	s_cbranch_execnz .LBB1_194
; %bb.195:                              ;   in Loop: Header=BB1_193 Depth=4
	s_or_b32 exec_lo, exec_lo, s42
	s_mov_b32 s6, -1
	s_or_b32 s41, s41, exec_lo
	s_mov_b32 s42, exec_lo
	v_cmpx_ne_u32_e32 0, v9
	s_cbranch_execz .LBB1_192
; %bb.196:                              ;   in Loop: Header=BB1_193 Depth=4
	s_add_i32 s39, s39, 1
	s_andn2_b32 s41, s41, exec_lo
	v_cmp_eq_u32_e64 s5, s39, v10
	s_orn2_b32 s6, s5, exec_lo
	s_branch .LBB1_192
.LBB1_197:                              ;   in Loop: Header=BB1_185 Depth=3
	s_inst_prefetch 0x2
	s_or_b32 exec_lo, exec_lo, s38
	s_orn2_b32 s6, s40, exec_lo
.LBB1_198:                              ;   in Loop: Header=BB1_185 Depth=3
	s_or_b32 exec_lo, exec_lo, s37
	s_mov_b32 s5, 0
	s_and_saveexec_b32 s37, s6
	s_xor_b32 s6, exec_lo, s37
; %bb.199:                              ;   in Loop: Header=BB1_185 Depth=3
	s_mov_b32 s5, exec_lo
; %bb.200:                              ;   in Loop: Header=BB1_185 Depth=3
	s_or_b32 exec_lo, exec_lo, s6
	s_and_b32 s6, s5, exec_lo
.LBB1_201:                              ;   in Loop: Header=BB1_185 Depth=3
	s_or_b32 exec_lo, exec_lo, s36
	s_orn2_b32 s6, s6, exec_lo
.LBB1_202:                              ;   in Loop: Header=BB1_185 Depth=3
	s_or_b32 exec_lo, exec_lo, s34
	s_and_b32 s34, s6, exec_lo
                                        ; implicit-def: $vgpr41
                                        ; implicit-def: $vgpr8_vgpr9
.LBB1_203:                              ;   in Loop: Header=BB1_185 Depth=3
	s_andn2_saveexec_b32 s35, s35
	s_cbranch_execz .LBB1_220
; %bb.204:                              ;   in Loop: Header=BB1_185 Depth=3
	s_mov_b32 s36, exec_lo
	v_cmpx_eq_u32_e64 v41, v0
	s_cbranch_execz .LBB1_219
; %bb.205:                              ;   in Loop: Header=BB1_185 Depth=3
	s_clause 0x3
	global_load_dwordx4 v[41:44], v[8:9], off
	global_load_dwordx4 v[45:48], v[8:9], off offset:12
	global_load_dwordx4 v[49:52], v[22:23], off offset:4
	global_load_ubyte v10, v[22:23], off offset:24
	s_mov_b32 s5, -1
	buffer_store_dword v39, off, s[0:3], 0 offset:244
	s_waitcnt vmcnt(3)
	buffer_store_dword v44, off, s[0:3], 0 offset:264
	buffer_store_dword v43, off, s[0:3], 0 offset:260
	buffer_store_dword v42, off, s[0:3], 0 offset:256
	buffer_store_dword v41, off, s[0:3], 0 offset:252
	s_waitcnt vmcnt(2)
	buffer_store_dword v48, off, s[0:3], 0 offset:276
	buffer_store_dword v47, off, s[0:3], 0 offset:272
	buffer_store_dword v46, off, s[0:3], 0 offset:268
	;; [unrolled: 5-line block ×3, first 2 shown]
	buffer_store_dword v52, off, s[0:3], 0 offset:240
	s_waitcnt vmcnt(0)
	buffer_store_byte v10, off, s[0:3], 0 offset:248
	s_and_saveexec_b32 s37, vcc_lo
	s_cbranch_execz .LBB1_217
; %bb.206:                              ;   in Loop: Header=BB1_185 Depth=3
	buffer_load_dword v10, off, s[0:3], 0 offset:272
	s_mov_b32 s39, -1
	s_mov_b32 s6, 0
	s_mov_b32 s38, exec_lo
	s_waitcnt vmcnt(0)
	v_bfe_u32 v10, v10, 27, 4
	v_cmpx_ne_u32_e32 0, v10
	s_cbranch_execz .LBB1_214
; %bb.207:                              ;   in Loop: Header=BB1_185 Depth=3
	s_mov_b32 s39, 0
	s_mov_b32 s41, 0
                                        ; implicit-def: $sgpr40
                                        ; implicit-def: $sgpr42
	s_inst_prefetch 0x1
	s_branch .LBB1_209
	.p2align	6
.LBB1_208:                              ;   in Loop: Header=BB1_209 Depth=4
	s_or_b32 exec_lo, exec_lo, s43
	s_and_b32 s5, exec_lo, s6
	s_or_b32 s39, s5, s39
	s_andn2_b32 s5, s40, exec_lo
	s_and_b32 s6, s42, exec_lo
	s_or_b32 s40, s5, s6
	s_andn2_b32 exec_lo, exec_lo, s39
	s_cbranch_execz .LBB1_213
.LBB1_209:                              ;   Parent Loop BB1_3 Depth=1
                                        ;     Parent Loop BB1_6 Depth=2
                                        ;       Parent Loop BB1_185 Depth=3
                                        ; =>      This Loop Header: Depth=4
                                        ;           Child Loop BB1_210 Depth 5
	s_lshl_b32 s5, s41, 2
	v_mov_b32_e32 v42, v10
	v_add_nc_u32_e64 v11, 0xe0, s5
	s_mov_b32 s43, 0
	s_mov_b32 s44, s11
	buffer_load_dword v41, v11, s[0:3], 0 offen offset:4
	v_mov_b32_e32 v11, 0
.LBB1_210:                              ;   Parent Loop BB1_3 Depth=1
                                        ;     Parent Loop BB1_6 Depth=2
                                        ;       Parent Loop BB1_185 Depth=3
                                        ;         Parent Loop BB1_209 Depth=4
                                        ; =>        This Inner Loop Header: Depth=5
	v_mov_b32_e32 v43, s44
	v_add_nc_u32_e32 v42, -1, v42
	s_add_i32 s44, s44, 4
	buffer_load_dword v43, v43, s[0:3], 0 offen
	v_cmp_eq_u32_e64 s5, 0, v42
	s_or_b32 s43, s5, s43
	s_waitcnt vmcnt(0)
	v_cmp_ne_u32_e64 s6, v43, v41
	v_cndmask_b32_e64 v11, 1, v11, s6
	s_andn2_b32 exec_lo, exec_lo, s43
	s_cbranch_execnz .LBB1_210
; %bb.211:                              ;   in Loop: Header=BB1_209 Depth=4
	s_or_b32 exec_lo, exec_lo, s43
	s_mov_b32 s6, -1
	s_or_b32 s42, s42, exec_lo
	s_mov_b32 s43, exec_lo
	v_cmpx_ne_u32_e32 0, v11
	s_cbranch_execz .LBB1_208
; %bb.212:                              ;   in Loop: Header=BB1_209 Depth=4
	s_add_i32 s41, s41, 1
	s_andn2_b32 s42, s42, exec_lo
	v_cmp_eq_u32_e64 s5, s41, v40
	s_orn2_b32 s6, s5, exec_lo
	s_branch .LBB1_208
.LBB1_213:                              ;   in Loop: Header=BB1_185 Depth=3
	s_inst_prefetch 0x2
	s_or_b32 exec_lo, exec_lo, s39
	s_mov_b32 s6, exec_lo
	s_orn2_b32 s39, s40, exec_lo
.LBB1_214:                              ;   in Loop: Header=BB1_185 Depth=3
	s_or_b32 exec_lo, exec_lo, s38
	s_and_saveexec_b32 s5, s39
; %bb.215:                              ;   in Loop: Header=BB1_185 Depth=3
	s_andn2_b32 s6, s6, exec_lo
; %bb.216:                              ;   in Loop: Header=BB1_185 Depth=3
	s_or_b32 exec_lo, exec_lo, s5
	s_orn2_b32 s5, s6, exec_lo
.LBB1_217:                              ;   in Loop: Header=BB1_185 Depth=3
	s_or_b32 exec_lo, exec_lo, s37
	s_and_b32 exec_lo, exec_lo, s5
	s_cbranch_execz .LBB1_219
; %bb.218:                              ;   in Loop: Header=BB1_185 Depth=3
	global_store_byte v[8:9], v35, off offset:24
.LBB1_219:                              ;   in Loop: Header=BB1_185 Depth=3
	s_or_b32 exec_lo, exec_lo, s36
	s_or_b32 s34, s34, exec_lo
.LBB1_220:                              ;   in Loop: Header=BB1_185 Depth=3
	s_or_b32 exec_lo, exec_lo, s35
	s_orn2_b32 s6, s34, exec_lo
.LBB1_221:                              ;   in Loop: Header=BB1_185 Depth=3
	s_or_b32 exec_lo, exec_lo, s33
	s_andn2_b32 s4, s4, exec_lo
	s_and_b32 s5, s6, exec_lo
	s_or_b32 s4, s4, s5
.LBB1_222:                              ;   in Loop: Header=BB1_185 Depth=3
	s_or_b32 exec_lo, exec_lo, s31
	s_mov_b32 s5, -1
	s_or_b32 s30, s30, exec_lo
	s_and_saveexec_b32 s6, s4
	s_cbranch_execz .LBB1_184
; %bb.223:                              ;   in Loop: Header=BB1_185 Depth=3
	s_add_i32 s28, s28, 1
	s_cmp_eq_u32 s28, 8
	s_cselect_b32 s4, -1, 0
	s_andn2_b32 s30, s30, exec_lo
	s_orn2_b32 s5, s4, exec_lo
	s_branch .LBB1_184
.LBB1_224:                              ;   in Loop: Header=BB1_6 Depth=2
	s_andn2_saveexec_b32 s7, s7
	s_cbranch_execz .LBB1_159
.LBB1_225:                              ;   in Loop: Header=BB1_6 Depth=2
	v_cmp_ne_u32_e32 vcc_lo, 0, v38
	v_mov_b32_e32 v8, 0
	v_mov_b32_e32 v9, 1
	;; [unrolled: 1-line block ×3, first 2 shown]
	s_andn2_b32 s4, s4, exec_lo
	s_and_b32 s27, vcc_lo, exec_lo
	s_mov_b32 s6, exec_lo
	s_or_b32 s4, s4, s27
	s_or_b32 exec_lo, exec_lo, s7
	v_mov_b32_e32 v11, 0
	s_and_saveexec_b32 s7, s4
	s_cbranch_execz .LBB1_160
.LBB1_226:                              ;   in Loop: Header=BB1_6 Depth=2
	s_mov_b32 s27, 0
	s_mov_b32 s29, 0
	s_mov_b32 s28, exec_lo
	v_cmp_ne_u32_e32 vcc_lo, v9, v38
	global_store_dword v[22:23], v10, off offset:4
                                        ; implicit-def: $vgpr10
	v_cmpx_ne_u32_e64 v8, v37
	s_xor_b32 s28, exec_lo, s28
	s_cbranch_execz .LBB1_268
; %bb.227:                              ;   in Loop: Header=BB1_6 Depth=2
	v_lshl_add_u32 v39, v8, 2, v31
                                        ; implicit-def: $vgpr10
	s_and_saveexec_b32 s4, vcc_lo
	s_xor_b32 s29, exec_lo, s4
	s_cbranch_execz .LBB1_237
; %bb.228:                              ;   in Loop: Header=BB1_6 Depth=2
	v_lshl_add_u32 v10, v9, 2, v30
	s_mov_b32 s30, exec_lo
	ds_read_b32 v11, v10 offset:4
	ds_read_b32 v39, v39 offset:4
                                        ; implicit-def: $vgpr10
	s_waitcnt lgkmcnt(0)
	v_cmpx_ge_i32_e64 v11, v39
	s_xor_b32 s30, exec_lo, s30
	s_cbranch_execz .LBB1_234
; %bb.229:                              ;   in Loop: Header=BB1_6 Depth=2
	v_cmp_le_i32_e64 s4, v11, v39
                                        ; implicit-def: $vgpr10
	s_and_saveexec_b32 s31, s4
	s_xor_b32 s4, exec_lo, s31
	s_cbranch_execz .LBB1_231
; %bb.230:                              ;   in Loop: Header=BB1_6 Depth=2
	v_add_nc_u32_e32 v10, 1, v9
	v_add_nc_u32_e32 v8, 1, v8
	global_store_dword v[22:23], v11, off offset:8
                                        ; implicit-def: $vgpr39
                                        ; implicit-def: $vgpr9
.LBB1_231:                              ;   in Loop: Header=BB1_6 Depth=2
	s_andn2_saveexec_b32 s4, s4
	s_cbranch_execz .LBB1_233
; %bb.232:                              ;   in Loop: Header=BB1_6 Depth=2
	v_add_nc_u32_e32 v8, 1, v8
	v_mov_b32_e32 v10, v9
	global_store_dword v[22:23], v39, off offset:8
.LBB1_233:                              ;   in Loop: Header=BB1_6 Depth=2
	s_or_b32 exec_lo, exec_lo, s4
                                        ; implicit-def: $vgpr9
                                        ; implicit-def: $vgpr11
.LBB1_234:                              ;   in Loop: Header=BB1_6 Depth=2
	s_andn2_saveexec_b32 s4, s30
	s_cbranch_execz .LBB1_236
; %bb.235:                              ;   in Loop: Header=BB1_6 Depth=2
	v_add_nc_u32_e32 v10, 1, v9
	global_store_dword v[22:23], v11, off offset:8
.LBB1_236:                              ;   in Loop: Header=BB1_6 Depth=2
	s_or_b32 exec_lo, exec_lo, s4
                                        ; implicit-def: $vgpr39
.LBB1_237:                              ;   in Loop: Header=BB1_6 Depth=2
	s_andn2_saveexec_b32 s4, s29
	s_cbranch_execz .LBB1_239
; %bb.238:                              ;   in Loop: Header=BB1_6 Depth=2
	ds_read_b32 v9, v39 offset:4
	v_add_nc_u32_e32 v8, 1, v8
	v_mov_b32_e32 v10, v38
	s_waitcnt lgkmcnt(0)
	global_store_dword v[22:23], v9, off offset:8
.LBB1_239:                              ;   in Loop: Header=BB1_6 Depth=2
	s_or_b32 exec_lo, exec_lo, s4
	s_mov_b32 s29, exec_lo
                                        ; implicit-def: $vgpr9
	s_andn2_saveexec_b32 s4, s28
	s_cbranch_execnz .LBB1_269
.LBB1_240:                              ;   in Loop: Header=BB1_6 Depth=2
	s_or_b32 exec_lo, exec_lo, s4
	v_bfrev_b32_e32 v11, 16
	s_and_saveexec_b32 s28, s29
	s_cbranch_execnz .LBB1_272
	s_branch .LBB1_343
.LBB1_241:                              ;   in Loop: Header=BB1_6 Depth=2
	s_andn2_saveexec_b32 s5, s29
	s_cbranch_execz .LBB1_179
.LBB1_242:                              ;   in Loop: Header=BB1_6 Depth=2
	s_mov_b32 s6, -1
	s_mov_b32 s28, s30
                                        ; implicit-def: $vgpr9
	s_and_saveexec_b32 s29, s4
	s_cbranch_execz .LBB1_244
; %bb.243:                              ;   in Loop: Header=BB1_6 Depth=2
	v_cndmask_b32_e32 v8, v1, v2, vcc_lo
	v_cndmask_b32_e64 v9, 1, 2, vcc_lo
	s_xor_b32 s6, exec_lo, -1
	s_or_b32 s28, s30, exec_lo
	global_store_dword v[22:23], v8, off offset:8
.LBB1_244:                              ;   in Loop: Header=BB1_6 Depth=2
	s_or_b32 exec_lo, exec_lo, s29
	v_mov_b32_e32 v8, v38
	s_andn2_b32 s4, s30, exec_lo
	s_and_b32 s29, s28, exec_lo
	s_and_b32 s28, s6, exec_lo
	s_or_b32 s30, s4, s29
	s_or_b32 exec_lo, exec_lo, s5
	v_bfrev_b32_e32 v11, 16
	s_and_saveexec_b32 s5, s30
	s_cbranch_execz .LBB1_180
.LBB1_245:                              ;   in Loop: Header=BB1_6 Depth=2
	s_mov_b32 s30, 0
	s_mov_b32 s6, exec_lo
	v_cmp_ne_u32_e32 vcc_lo, v9, v37
                                        ; implicit-def: $vgpr10
	v_cmpx_ne_u32_e64 v8, v38
	s_xor_b32 s6, exec_lo, s6
	s_cbranch_execz .LBB1_287
; %bb.246:                              ;   in Loop: Header=BB1_6 Depth=2
	v_lshl_add_u32 v39, v8, 2, 0x134
                                        ; implicit-def: $vgpr10
	s_and_saveexec_b32 s4, vcc_lo
	s_xor_b32 s29, exec_lo, s4
	s_cbranch_execz .LBB1_256
; %bb.247:                              ;   in Loop: Header=BB1_6 Depth=2
	v_lshl_add_u32 v10, v9, 2, 0x118
	s_mov_b32 s30, exec_lo
	s_clause 0x1
	buffer_load_dword v11, v10, s[0:3], 0 offen offset:4
	buffer_load_dword v39, v39, s[0:3], 0 offen offset:4
                                        ; implicit-def: $vgpr10
	s_waitcnt vmcnt(0)
	v_cmpx_ge_i32_e64 v11, v39
	s_xor_b32 s30, exec_lo, s30
	s_cbranch_execz .LBB1_253
; %bb.248:                              ;   in Loop: Header=BB1_6 Depth=2
	v_cmp_le_i32_e64 s4, v11, v39
                                        ; implicit-def: $vgpr10
	s_and_saveexec_b32 s31, s4
	s_xor_b32 s4, exec_lo, s31
	s_cbranch_execz .LBB1_250
; %bb.249:                              ;   in Loop: Header=BB1_6 Depth=2
	v_add_nc_u32_e32 v10, 1, v9
	v_add_nc_u32_e32 v8, 1, v8
	global_store_dword v[22:23], v11, off offset:12
                                        ; implicit-def: $vgpr39
                                        ; implicit-def: $vgpr9
.LBB1_250:                              ;   in Loop: Header=BB1_6 Depth=2
	s_andn2_saveexec_b32 s4, s4
	s_cbranch_execz .LBB1_252
; %bb.251:                              ;   in Loop: Header=BB1_6 Depth=2
	v_add_nc_u32_e32 v8, 1, v8
	v_mov_b32_e32 v10, v9
	global_store_dword v[22:23], v39, off offset:12
.LBB1_252:                              ;   in Loop: Header=BB1_6 Depth=2
	s_or_b32 exec_lo, exec_lo, s4
                                        ; implicit-def: $vgpr9
                                        ; implicit-def: $vgpr11
.LBB1_253:                              ;   in Loop: Header=BB1_6 Depth=2
	s_andn2_saveexec_b32 s4, s30
	s_cbranch_execz .LBB1_255
; %bb.254:                              ;   in Loop: Header=BB1_6 Depth=2
	v_add_nc_u32_e32 v10, 1, v9
	global_store_dword v[22:23], v11, off offset:12
.LBB1_255:                              ;   in Loop: Header=BB1_6 Depth=2
	s_or_b32 exec_lo, exec_lo, s4
                                        ; implicit-def: $vgpr39
.LBB1_256:                              ;   in Loop: Header=BB1_6 Depth=2
	s_andn2_saveexec_b32 s4, s29
	s_cbranch_execz .LBB1_258
; %bb.257:                              ;   in Loop: Header=BB1_6 Depth=2
	buffer_load_dword v9, v39, s[0:3], 0 offen offset:4
	v_add_nc_u32_e32 v8, 1, v8
	v_mov_b32_e32 v10, v37
	s_waitcnt vmcnt(0)
	global_store_dword v[22:23], v9, off offset:12
.LBB1_258:                              ;   in Loop: Header=BB1_6 Depth=2
	s_or_b32 exec_lo, exec_lo, s4
	s_mov_b32 s30, exec_lo
                                        ; implicit-def: $vgpr9
	s_or_saveexec_b32 s4, s6
	s_mov_b32 s6, s28
	s_xor_b32 exec_lo, exec_lo, s4
	s_cbranch_execnz .LBB1_288
.LBB1_259:                              ;   in Loop: Header=BB1_6 Depth=2
	s_or_b32 exec_lo, exec_lo, s4
	v_bfrev_b32_e32 v11, 8
	s_and_saveexec_b32 s29, s30
	s_cbranch_execnz .LBB1_291
	s_branch .LBB1_352
.LBB1_260:                              ;   in Loop: Header=BB1_6 Depth=2
	s_or_b32 exec_lo, exec_lo, s7
	s_xor_b32 s4, s29, -1
                                        ; implicit-def: $vgpr8
	s_and_saveexec_b32 s5, s4
	s_xor_b32 s28, exec_lo, s5
	s_cbranch_execz .LBB1_492
; %bb.261:                              ;   in Loop: Header=BB1_6 Depth=2
	s_clause 0x1
	global_load_dwordx4 v[8:11], v[22:23], off offset:4
	global_load_ubyte v42, v[22:23], off offset:24
	global_load_dword v43, v[14:15], off offset:4
	global_load_dword v41, v[16:17], off offset:4
	v_mov_b32_e32 v0, 0
	buffer_store_dword v5, off, s[0:3], 0 offset:116
	buffer_store_dword v6, off, s[0:3], 0 offset:120
	;; [unrolled: 1-line block ×5, first 2 shown]
	s_waitcnt vmcnt(4)
	buffer_store_byte v36, off, s[0:3], 0 offset:136
	buffer_store_dword v39, off, s[0:3], 0 offset:160
	s_waitcnt vmcnt(3)
	buffer_store_dword v8, off, s[0:3], 0 offset:144
	buffer_store_dword v9, off, s[0:3], 0 offset:148
	;; [unrolled: 1-line block ×4, first 2 shown]
	s_waitcnt vmcnt(2)
	buffer_store_byte v42, off, s[0:3], 0 offset:164
	s_and_saveexec_b32 s6, vcc_lo
	s_cbranch_execz .LBB1_307
; %bb.262:                              ;   in Loop: Header=BB1_6 Depth=2
	v_cmp_ne_u32_e64 s4, 0, v38
	v_mov_b32_e32 v0, 0
	s_mov_b32 s7, 0
	s_mov_b32 s29, 0
	s_inst_prefetch 0x1
	s_branch .LBB1_264
	.p2align	6
.LBB1_263:                              ;   in Loop: Header=BB1_264 Depth=3
	s_or_b32 exec_lo, exec_lo, s30
	s_add_i32 s29, s29, 1
	v_cmp_eq_u32_e64 s5, s29, v40
	s_or_b32 s7, s5, s7
	s_andn2_b32 exec_lo, exec_lo, s7
	s_cbranch_execz .LBB1_306
.LBB1_264:                              ;   Parent Loop BB1_3 Depth=1
                                        ;     Parent Loop BB1_6 Depth=2
                                        ; =>    This Loop Header: Depth=3
                                        ;         Child Loop BB1_266 Depth 4
	s_and_saveexec_b32 s30, s4
	s_cbranch_execz .LBB1_263
; %bb.265:                              ;   in Loop: Header=BB1_264 Depth=3
	s_lshl_b32 s5, s29, 2
	v_mov_b32_e32 v6, v38
	v_add_nc_u32_e64 v5, 0x8c, s5
	s_lshl_b32 s33, 1, s29
	s_mov_b32 s31, 0
	s_mov_b32 s34, s8
	buffer_load_dword v5, v5, s[0:3], 0 offen offset:4
.LBB1_266:                              ;   Parent Loop BB1_3 Depth=1
                                        ;     Parent Loop BB1_6 Depth=2
                                        ;       Parent Loop BB1_264 Depth=3
                                        ; =>      This Inner Loop Header: Depth=4
	v_mov_b32_e32 v7, s34
	v_add_nc_u32_e32 v6, -1, v6
	s_add_i32 s34, s34, 4
	buffer_load_dword v7, v7, s[0:3], 0 offen
	s_waitcnt vmcnt(0)
	v_cmp_eq_u32_e64 s5, v7, v5
	v_cndmask_b32_e64 v7, 0, s33, s5
	v_cmp_eq_u32_e64 s5, 0, v6
	v_or_b32_e32 v0, v7, v0
	s_or_b32 s31, s5, s31
	s_andn2_b32 exec_lo, exec_lo, s31
	s_cbranch_execnz .LBB1_266
; %bb.267:                              ;   in Loop: Header=BB1_264 Depth=3
	s_or_b32 exec_lo, exec_lo, s31
	s_branch .LBB1_263
.LBB1_268:                              ;   in Loop: Header=BB1_6 Depth=2
	s_andn2_saveexec_b32 s4, s28
	s_cbranch_execz .LBB1_240
.LBB1_269:                              ;   in Loop: Header=BB1_6 Depth=2
	s_mov_b32 s27, -1
	s_mov_b32 s28, s29
                                        ; implicit-def: $vgpr10
	s_and_saveexec_b32 s30, vcc_lo
	s_cbranch_execz .LBB1_271
; %bb.270:                              ;   in Loop: Header=BB1_6 Depth=2
	v_lshl_add_u32 v8, v9, 2, v30
	v_add_nc_u32_e32 v10, 1, v9
	s_xor_b32 s27, exec_lo, -1
	s_or_b32 s28, s29, exec_lo
	ds_read_b32 v8, v8 offset:4
	s_waitcnt lgkmcnt(0)
	global_store_dword v[22:23], v8, off offset:8
.LBB1_271:                              ;   in Loop: Header=BB1_6 Depth=2
	s_or_b32 exec_lo, exec_lo, s30
	v_mov_b32_e32 v8, v37
	s_andn2_b32 s29, s29, exec_lo
	s_and_b32 s28, s28, exec_lo
	s_and_b32 s27, s27, exec_lo
	s_or_b32 s29, s29, s28
	s_or_b32 exec_lo, exec_lo, s4
	v_bfrev_b32_e32 v11, 16
	s_and_saveexec_b32 s28, s29
	s_cbranch_execz .LBB1_343
.LBB1_272:                              ;   in Loop: Header=BB1_6 Depth=2
	s_mov_b32 s31, 0
	s_mov_b32 s29, exec_lo
	v_cmp_ne_u32_e32 vcc_lo, v10, v38
                                        ; implicit-def: $vgpr9
	v_cmpx_ne_u32_e64 v8, v37
	s_xor_b32 s29, exec_lo, s29
	s_cbranch_execz .LBB1_321
; %bb.273:                              ;   in Loop: Header=BB1_6 Depth=2
	v_lshl_add_u32 v39, v8, 2, v31
                                        ; implicit-def: $vgpr9
	s_and_saveexec_b32 s4, vcc_lo
	s_xor_b32 s30, exec_lo, s4
	s_cbranch_execz .LBB1_283
; %bb.274:                              ;   in Loop: Header=BB1_6 Depth=2
	v_lshl_add_u32 v9, v10, 2, v30
	s_mov_b32 s31, exec_lo
	ds_read_b32 v11, v9 offset:4
	ds_read_b32 v39, v39 offset:4
                                        ; implicit-def: $vgpr9
	s_waitcnt lgkmcnt(0)
	v_cmpx_ge_i32_e64 v11, v39
	s_xor_b32 s31, exec_lo, s31
	s_cbranch_execz .LBB1_280
; %bb.275:                              ;   in Loop: Header=BB1_6 Depth=2
	v_cmp_le_i32_e64 s4, v11, v39
                                        ; implicit-def: $vgpr9
	s_and_saveexec_b32 s33, s4
	s_xor_b32 s4, exec_lo, s33
	s_cbranch_execz .LBB1_277
; %bb.276:                              ;   in Loop: Header=BB1_6 Depth=2
	v_add_nc_u32_e32 v9, 1, v10
	v_add_nc_u32_e32 v8, 1, v8
	global_store_dword v[22:23], v11, off offset:12
                                        ; implicit-def: $vgpr39
                                        ; implicit-def: $vgpr10
.LBB1_277:                              ;   in Loop: Header=BB1_6 Depth=2
	s_andn2_saveexec_b32 s4, s4
	s_cbranch_execz .LBB1_279
; %bb.278:                              ;   in Loop: Header=BB1_6 Depth=2
	v_add_nc_u32_e32 v8, 1, v8
	v_mov_b32_e32 v9, v10
	global_store_dword v[22:23], v39, off offset:12
.LBB1_279:                              ;   in Loop: Header=BB1_6 Depth=2
	s_or_b32 exec_lo, exec_lo, s4
                                        ; implicit-def: $vgpr10
                                        ; implicit-def: $vgpr11
.LBB1_280:                              ;   in Loop: Header=BB1_6 Depth=2
	s_andn2_saveexec_b32 s4, s31
	s_cbranch_execz .LBB1_282
; %bb.281:                              ;   in Loop: Header=BB1_6 Depth=2
	v_add_nc_u32_e32 v9, 1, v10
	global_store_dword v[22:23], v11, off offset:12
.LBB1_282:                              ;   in Loop: Header=BB1_6 Depth=2
	s_or_b32 exec_lo, exec_lo, s4
                                        ; implicit-def: $vgpr39
.LBB1_283:                              ;   in Loop: Header=BB1_6 Depth=2
	s_andn2_saveexec_b32 s4, s30
	s_cbranch_execz .LBB1_285
; %bb.284:                              ;   in Loop: Header=BB1_6 Depth=2
	ds_read_b32 v10, v39 offset:4
	v_add_nc_u32_e32 v8, 1, v8
	v_mov_b32_e32 v9, v38
	s_waitcnt lgkmcnt(0)
	global_store_dword v[22:23], v10, off offset:12
.LBB1_285:                              ;   in Loop: Header=BB1_6 Depth=2
	s_or_b32 exec_lo, exec_lo, s4
	s_mov_b32 s31, exec_lo
                                        ; implicit-def: $vgpr10
	s_or_saveexec_b32 s4, s29
	s_mov_b32 s29, s27
	s_xor_b32 exec_lo, exec_lo, s4
	s_cbranch_execnz .LBB1_322
.LBB1_286:                              ;   in Loop: Header=BB1_6 Depth=2
	s_or_b32 exec_lo, exec_lo, s4
	v_bfrev_b32_e32 v11, 8
	s_and_saveexec_b32 s30, s31
	s_cbranch_execnz .LBB1_325
	s_branch .LBB1_342
.LBB1_287:                              ;   in Loop: Header=BB1_6 Depth=2
	s_or_saveexec_b32 s4, s6
	s_mov_b32 s6, s28
	s_xor_b32 exec_lo, exec_lo, s4
	s_cbranch_execz .LBB1_259
.LBB1_288:                              ;   in Loop: Header=BB1_6 Depth=2
	s_mov_b32 s29, -1
	s_mov_b32 s6, s30
                                        ; implicit-def: $vgpr10
	s_and_saveexec_b32 s31, vcc_lo
	s_cbranch_execz .LBB1_290
; %bb.289:                              ;   in Loop: Header=BB1_6 Depth=2
	v_lshl_add_u32 v8, v9, 2, 0x118
	v_add_nc_u32_e32 v10, 1, v9
	s_xor_b32 s29, exec_lo, -1
	s_or_b32 s6, s30, exec_lo
	buffer_load_dword v8, v8, s[0:3], 0 offen offset:4
	s_waitcnt vmcnt(0)
	global_store_dword v[22:23], v8, off offset:12
.LBB1_290:                              ;   in Loop: Header=BB1_6 Depth=2
	s_or_b32 exec_lo, exec_lo, s31
	v_mov_b32_e32 v8, v38
	s_andn2_b32 s31, s28, exec_lo
	s_and_b32 s29, s29, exec_lo
	s_andn2_b32 s30, s30, exec_lo
	s_and_b32 s33, s6, exec_lo
	s_or_b32 s6, s31, s29
	s_or_b32 s30, s30, s33
	s_or_b32 exec_lo, exec_lo, s4
	v_bfrev_b32_e32 v11, 8
	s_and_saveexec_b32 s29, s30
	s_cbranch_execz .LBB1_352
.LBB1_291:                              ;   in Loop: Header=BB1_6 Depth=2
	s_mov_b32 s31, 0
	s_mov_b32 s30, exec_lo
	v_cmp_ne_u32_e32 vcc_lo, v10, v37
                                        ; implicit-def: $vgpr9
	v_cmpx_ne_u32_e64 v8, v38
	s_xor_b32 s30, exec_lo, s30
	s_cbranch_execz .LBB1_344
; %bb.292:                              ;   in Loop: Header=BB1_6 Depth=2
	v_lshl_add_u32 v39, v8, 2, 0x134
                                        ; implicit-def: $vgpr9
	s_and_saveexec_b32 s4, vcc_lo
	s_xor_b32 s31, exec_lo, s4
	s_cbranch_execz .LBB1_302
; %bb.293:                              ;   in Loop: Header=BB1_6 Depth=2
	v_lshl_add_u32 v9, v10, 2, 0x118
	s_mov_b32 s33, exec_lo
	s_clause 0x1
	buffer_load_dword v11, v9, s[0:3], 0 offen offset:4
	buffer_load_dword v39, v39, s[0:3], 0 offen offset:4
                                        ; implicit-def: $vgpr9
	s_waitcnt vmcnt(0)
	v_cmpx_ge_i32_e64 v11, v39
	s_xor_b32 s33, exec_lo, s33
	s_cbranch_execz .LBB1_299
; %bb.294:                              ;   in Loop: Header=BB1_6 Depth=2
	v_cmp_le_i32_e64 s4, v11, v39
                                        ; implicit-def: $vgpr9
	s_and_saveexec_b32 s34, s4
	s_xor_b32 s4, exec_lo, s34
	s_cbranch_execz .LBB1_296
; %bb.295:                              ;   in Loop: Header=BB1_6 Depth=2
	v_add_nc_u32_e32 v9, 1, v10
	v_add_nc_u32_e32 v8, 1, v8
	global_store_dword v[22:23], v11, off offset:16
                                        ; implicit-def: $vgpr39
                                        ; implicit-def: $vgpr10
.LBB1_296:                              ;   in Loop: Header=BB1_6 Depth=2
	s_andn2_saveexec_b32 s4, s4
	s_cbranch_execz .LBB1_298
; %bb.297:                              ;   in Loop: Header=BB1_6 Depth=2
	v_add_nc_u32_e32 v8, 1, v8
	v_mov_b32_e32 v9, v10
	global_store_dword v[22:23], v39, off offset:16
.LBB1_298:                              ;   in Loop: Header=BB1_6 Depth=2
	s_or_b32 exec_lo, exec_lo, s4
                                        ; implicit-def: $vgpr10
                                        ; implicit-def: $vgpr11
.LBB1_299:                              ;   in Loop: Header=BB1_6 Depth=2
	s_andn2_saveexec_b32 s4, s33
	s_cbranch_execz .LBB1_301
; %bb.300:                              ;   in Loop: Header=BB1_6 Depth=2
	v_add_nc_u32_e32 v9, 1, v10
	global_store_dword v[22:23], v11, off offset:16
.LBB1_301:                              ;   in Loop: Header=BB1_6 Depth=2
	s_or_b32 exec_lo, exec_lo, s4
                                        ; implicit-def: $vgpr39
.LBB1_302:                              ;   in Loop: Header=BB1_6 Depth=2
	s_andn2_saveexec_b32 s4, s31
	s_cbranch_execz .LBB1_304
; %bb.303:                              ;   in Loop: Header=BB1_6 Depth=2
	buffer_load_dword v10, v39, s[0:3], 0 offen offset:4
	v_add_nc_u32_e32 v8, 1, v8
	v_mov_b32_e32 v9, v37
	s_waitcnt vmcnt(0)
	global_store_dword v[22:23], v10, off offset:16
.LBB1_304:                              ;   in Loop: Header=BB1_6 Depth=2
	s_or_b32 exec_lo, exec_lo, s4
	s_mov_b32 s31, exec_lo
                                        ; implicit-def: $vgpr10
	s_or_saveexec_b32 s4, s30
	s_mov_b32 s30, s6
	s_xor_b32 exec_lo, exec_lo, s4
	s_cbranch_execnz .LBB1_345
.LBB1_305:                              ;   in Loop: Header=BB1_6 Depth=2
	s_or_b32 exec_lo, exec_lo, s4
	v_bfrev_b32_e32 v11, 24
	s_and_saveexec_b32 s33, s31
	s_cbranch_execnz .LBB1_348
	s_branch .LBB1_351
.LBB1_306:                              ;   in Loop: Header=BB1_6 Depth=2
	s_inst_prefetch 0x2
	s_or_b32 exec_lo, exec_lo, s7
.LBB1_307:                              ;   in Loop: Header=BB1_6 Depth=2
	s_or_b32 exec_lo, exec_lo, s6
	s_waitcnt vmcnt(1)
	v_cmp_ne_u32_e64 s4, 0, v43
	v_and_b32_e32 v7, 8, v0
	v_add_nc_u32_e32 v5, -1, v38
	s_mov_b32 s5, exec_lo
	v_cndmask_b32_e64 v6, 0, -1, s4
	v_xor_b32_e32 v6, v27, v6
	v_cmpx_ne_u32_e32 0, v7
	s_cbranch_execz .LBB1_355
; %bb.308:                              ;   in Loop: Header=BB1_6 Depth=2
	s_mov_b32 s6, exec_lo
	v_cmpx_gt_u32_e32 4, v38
	s_cbranch_execz .LBB1_354
; %bb.309:                              ;   in Loop: Header=BB1_6 Depth=2
	s_mov_b32 s7, 0
	s_branch .LBB1_312
.LBB1_310:                              ;   in Loop: Header=BB1_312 Depth=3
	s_or_b32 exec_lo, exec_lo, s30
.LBB1_311:                              ;   in Loop: Header=BB1_312 Depth=3
	s_or_b32 exec_lo, exec_lo, s29
	v_add_nc_u32_e32 v5, 1, v5
	v_cmp_lt_u32_e64 s4, 2, v5
	s_or_b32 s7, s4, s7
	s_andn2_b32 exec_lo, exec_lo, s7
	s_cbranch_execz .LBB1_353
.LBB1_312:                              ;   Parent Loop BB1_3 Depth=1
                                        ;     Parent Loop BB1_6 Depth=2
                                        ; =>    This Inner Loop Header: Depth=3
	v_mov_b32_e32 v7, v6
	s_mov_b32 s29, exec_lo
	v_cmpx_lt_i32_e32 0, v5
	s_xor_b32 s29, exec_lo, s29
	s_cbranch_execz .LBB1_318
; %bb.313:                              ;   in Loop: Header=BB1_312 Depth=3
	v_cmp_lt_i32_e64 s4, 1, v5
	s_and_saveexec_b32 s30, s4
	s_xor_b32 s4, exec_lo, s30
; %bb.314:                              ;   in Loop: Header=BB1_312 Depth=3
	v_lshlrev_b32_e32 v7, 4, v6
	v_lshrrev_b32_e32 v26, 4, v6
	v_and_b32_e32 v6, 0xf00ff00f, v6
	v_and_b32_e32 v7, 0xf000f00, v7
	;; [unrolled: 1-line block ×3, first 2 shown]
	v_or3_b32 v6, v7, v6, v26
; %bb.315:                              ;   in Loop: Header=BB1_312 Depth=3
	s_andn2_saveexec_b32 s4, s4
; %bb.316:                              ;   in Loop: Header=BB1_312 Depth=3
	v_lshlrev_b32_e32 v7, 2, v6
	v_lshrrev_b32_e32 v26, 2, v6
	v_and_b32_e32 v6, 0xc3c3c3c3, v6
	v_and_b32_e32 v7, 0x30303030, v7
	;; [unrolled: 1-line block ×3, first 2 shown]
	v_or3_b32 v6, v7, v6, v26
; %bb.317:                              ;   in Loop: Header=BB1_312 Depth=3
	s_or_b32 exec_lo, exec_lo, s4
                                        ; implicit-def: $vgpr7
.LBB1_318:                              ;   in Loop: Header=BB1_312 Depth=3
	s_andn2_saveexec_b32 s29, s29
	s_cbranch_execz .LBB1_311
; %bb.319:                              ;   in Loop: Header=BB1_312 Depth=3
	v_mov_b32_e32 v6, 0
	s_mov_b32 s30, exec_lo
	v_cmpx_eq_u32_e32 0, v5
	s_cbranch_execz .LBB1_310
; %bb.320:                              ;   in Loop: Header=BB1_312 Depth=3
	v_lshlrev_b32_e32 v6, 1, v7
	v_lshrrev_b32_e32 v26, 1, v7
	v_and_b32_e32 v7, 0x99999999, v7
	v_and_b32_e32 v6, 0x44444444, v6
	;; [unrolled: 1-line block ×3, first 2 shown]
	v_or3_b32 v6, v6, v7, v26
	s_branch .LBB1_310
.LBB1_321:                              ;   in Loop: Header=BB1_6 Depth=2
	s_or_saveexec_b32 s4, s29
	s_mov_b32 s29, s27
	s_xor_b32 exec_lo, exec_lo, s4
	s_cbranch_execz .LBB1_286
.LBB1_322:                              ;   in Loop: Header=BB1_6 Depth=2
	s_mov_b32 s30, -1
	s_mov_b32 s29, s31
                                        ; implicit-def: $vgpr9
	s_and_saveexec_b32 s33, vcc_lo
	s_cbranch_execz .LBB1_324
; %bb.323:                              ;   in Loop: Header=BB1_6 Depth=2
	v_lshl_add_u32 v8, v10, 2, v30
	v_add_nc_u32_e32 v9, 1, v10
	s_xor_b32 s30, exec_lo, -1
	s_or_b32 s29, s31, exec_lo
	ds_read_b32 v8, v8 offset:4
	s_waitcnt lgkmcnt(0)
	global_store_dword v[22:23], v8, off offset:12
.LBB1_324:                              ;   in Loop: Header=BB1_6 Depth=2
	s_or_b32 exec_lo, exec_lo, s33
	v_mov_b32_e32 v8, v37
	s_andn2_b32 s33, s27, exec_lo
	s_and_b32 s30, s30, exec_lo
	s_andn2_b32 s31, s31, exec_lo
	s_and_b32 s34, s29, exec_lo
	s_or_b32 s29, s33, s30
	s_or_b32 s31, s31, s34
	s_or_b32 exec_lo, exec_lo, s4
	v_bfrev_b32_e32 v11, 8
	s_and_saveexec_b32 s30, s31
	s_cbranch_execz .LBB1_342
.LBB1_325:                              ;   in Loop: Header=BB1_6 Depth=2
	s_mov_b32 s33, 0
	s_mov_b32 s31, exec_lo
	v_cmp_ne_u32_e32 vcc_lo, v9, v38
                                        ; implicit-def: $vgpr10
	v_cmpx_ne_u32_e64 v8, v37
	s_xor_b32 s31, exec_lo, s31
	s_cbranch_execz .LBB1_365
; %bb.326:                              ;   in Loop: Header=BB1_6 Depth=2
	v_lshl_add_u32 v39, v8, 2, v31
                                        ; implicit-def: $vgpr10
	s_and_saveexec_b32 s4, vcc_lo
	s_xor_b32 s33, exec_lo, s4
	s_cbranch_execz .LBB1_336
; %bb.327:                              ;   in Loop: Header=BB1_6 Depth=2
	v_lshl_add_u32 v10, v9, 2, v30
	s_mov_b32 s34, exec_lo
	ds_read_b32 v11, v10 offset:4
	ds_read_b32 v39, v39 offset:4
                                        ; implicit-def: $vgpr10
	s_waitcnt lgkmcnt(0)
	v_cmpx_ge_i32_e64 v11, v39
	s_xor_b32 s34, exec_lo, s34
	s_cbranch_execz .LBB1_333
; %bb.328:                              ;   in Loop: Header=BB1_6 Depth=2
	v_cmp_le_i32_e64 s4, v11, v39
                                        ; implicit-def: $vgpr10
	s_and_saveexec_b32 s35, s4
	s_xor_b32 s4, exec_lo, s35
	s_cbranch_execz .LBB1_330
; %bb.329:                              ;   in Loop: Header=BB1_6 Depth=2
	v_add_nc_u32_e32 v10, 1, v9
	v_add_nc_u32_e32 v8, 1, v8
	global_store_dword v[22:23], v11, off offset:16
                                        ; implicit-def: $vgpr39
                                        ; implicit-def: $vgpr9
.LBB1_330:                              ;   in Loop: Header=BB1_6 Depth=2
	s_andn2_saveexec_b32 s4, s4
	s_cbranch_execz .LBB1_332
; %bb.331:                              ;   in Loop: Header=BB1_6 Depth=2
	v_add_nc_u32_e32 v8, 1, v8
	v_mov_b32_e32 v10, v9
	global_store_dword v[22:23], v39, off offset:16
.LBB1_332:                              ;   in Loop: Header=BB1_6 Depth=2
	s_or_b32 exec_lo, exec_lo, s4
                                        ; implicit-def: $vgpr9
                                        ; implicit-def: $vgpr11
.LBB1_333:                              ;   in Loop: Header=BB1_6 Depth=2
	s_andn2_saveexec_b32 s4, s34
	s_cbranch_execz .LBB1_335
; %bb.334:                              ;   in Loop: Header=BB1_6 Depth=2
	v_add_nc_u32_e32 v10, 1, v9
	global_store_dword v[22:23], v11, off offset:16
.LBB1_335:                              ;   in Loop: Header=BB1_6 Depth=2
	s_or_b32 exec_lo, exec_lo, s4
                                        ; implicit-def: $vgpr39
.LBB1_336:                              ;   in Loop: Header=BB1_6 Depth=2
	s_andn2_saveexec_b32 s4, s33
	s_cbranch_execz .LBB1_338
; %bb.337:                              ;   in Loop: Header=BB1_6 Depth=2
	ds_read_b32 v9, v39 offset:4
	v_add_nc_u32_e32 v8, 1, v8
	v_mov_b32_e32 v10, v38
	s_waitcnt lgkmcnt(0)
	global_store_dword v[22:23], v9, off offset:16
.LBB1_338:                              ;   in Loop: Header=BB1_6 Depth=2
	s_or_b32 exec_lo, exec_lo, s4
	s_mov_b32 s33, exec_lo
                                        ; implicit-def: $vgpr9
	s_or_saveexec_b32 s4, s31
	s_mov_b32 s31, s29
	s_xor_b32 exec_lo, exec_lo, s4
	s_cbranch_execnz .LBB1_366
.LBB1_339:                              ;   in Loop: Header=BB1_6 Depth=2
	s_or_b32 exec_lo, exec_lo, s4
	v_bfrev_b32_e32 v11, 24
	s_and_saveexec_b32 s34, s33
.LBB1_340:                              ;   in Loop: Header=BB1_6 Depth=2
	v_cmp_ge_u32_e32 vcc_lo, v10, v38
	v_cmp_ge_u32_e64 s4, v8, v37
	v_bfrev_b32_e32 v11, 4
	s_andn2_b32 s31, s31, exec_lo
	s_and_b32 s4, vcc_lo, s4
	s_and_b32 s4, s4, exec_lo
	s_or_b32 s31, s31, s4
.LBB1_341:                              ;   in Loop: Header=BB1_6 Depth=2
	s_or_b32 exec_lo, exec_lo, s34
	s_andn2_b32 s4, s29, exec_lo
	s_and_b32 s29, s31, exec_lo
	s_or_b32 s29, s4, s29
.LBB1_342:                              ;   in Loop: Header=BB1_6 Depth=2
	s_or_b32 exec_lo, exec_lo, s30
	s_andn2_b32 s4, s27, exec_lo
	s_and_b32 s27, s29, exec_lo
	s_or_b32 s27, s4, s27
.LBB1_343:                              ;   in Loop: Header=BB1_6 Depth=2
	s_or_b32 exec_lo, exec_lo, s28
	s_andn2_b32 s4, s6, exec_lo
	s_and_b32 s6, s27, exec_lo
	s_or_b32 s6, s4, s6
	s_or_b32 exec_lo, exec_lo, s7
	s_mov_b32 s4, 0
                                        ; implicit-def: $vgpr39
	s_and_saveexec_b32 s7, s6
	s_cbranch_execz .LBB1_162
	s_branch .LBB1_161
.LBB1_344:                              ;   in Loop: Header=BB1_6 Depth=2
	s_or_saveexec_b32 s4, s30
	s_mov_b32 s30, s6
	s_xor_b32 exec_lo, exec_lo, s4
	s_cbranch_execz .LBB1_305
.LBB1_345:                              ;   in Loop: Header=BB1_6 Depth=2
	s_mov_b32 s33, -1
	s_mov_b32 s30, s31
                                        ; implicit-def: $vgpr9
	s_and_saveexec_b32 s34, vcc_lo
	s_cbranch_execz .LBB1_347
; %bb.346:                              ;   in Loop: Header=BB1_6 Depth=2
	v_lshl_add_u32 v8, v10, 2, 0x118
	v_add_nc_u32_e32 v9, 1, v10
	s_xor_b32 s33, exec_lo, -1
	s_or_b32 s30, s31, exec_lo
	buffer_load_dword v8, v8, s[0:3], 0 offen offset:4
	s_waitcnt vmcnt(0)
	global_store_dword v[22:23], v8, off offset:16
.LBB1_347:                              ;   in Loop: Header=BB1_6 Depth=2
	s_or_b32 exec_lo, exec_lo, s34
	v_mov_b32_e32 v8, v38
	s_andn2_b32 s34, s6, exec_lo
	s_and_b32 s33, s33, exec_lo
	s_andn2_b32 s31, s31, exec_lo
	s_and_b32 s35, s30, exec_lo
	s_or_b32 s30, s34, s33
	s_or_b32 s31, s31, s35
	s_or_b32 exec_lo, exec_lo, s4
	v_bfrev_b32_e32 v11, 24
	s_and_saveexec_b32 s33, s31
	s_cbranch_execz .LBB1_351
.LBB1_348:                              ;   in Loop: Header=BB1_6 Depth=2
	v_cmp_lt_u32_e32 vcc_lo, v9, v37
	v_cmp_lt_u32_e64 s4, v8, v38
	s_or_b32 s34, vcc_lo, s4
	s_mov_b32 s4, -1
	s_and_saveexec_b32 s31, s34
; %bb.349:                              ;   in Loop: Header=BB1_6 Depth=2
	s_xor_b32 s4, exec_lo, -1
; %bb.350:                              ;   in Loop: Header=BB1_6 Depth=2
	s_or_b32 exec_lo, exec_lo, s31
	v_bfrev_b32_e32 v11, 4
	s_andn2_b32 s30, s30, exec_lo
	s_and_b32 s4, s4, exec_lo
	s_or_b32 s30, s30, s4
.LBB1_351:                              ;   in Loop: Header=BB1_6 Depth=2
	s_or_b32 exec_lo, exec_lo, s33
	s_andn2_b32 s4, s6, exec_lo
	s_and_b32 s6, s30, exec_lo
	s_or_b32 s6, s4, s6
.LBB1_352:                              ;   in Loop: Header=BB1_6 Depth=2
	s_or_b32 exec_lo, exec_lo, s29
	s_andn2_b32 s4, s28, exec_lo
	s_and_b32 s6, s6, exec_lo
	s_or_b32 s28, s4, s6
	s_or_b32 exec_lo, exec_lo, s5
	s_mov_b32 s4, s7
                                        ; implicit-def: $vgpr39
	s_and_saveexec_b32 s5, s28
	s_cbranch_execz .LBB1_182
	s_branch .LBB1_181
.LBB1_353:                              ;   in Loop: Header=BB1_6 Depth=2
	s_or_b32 exec_lo, exec_lo, s7
.LBB1_354:                              ;   in Loop: Header=BB1_6 Depth=2
	s_or_b32 exec_lo, exec_lo, s6
	v_add_nc_u32_e32 v5, -2, v38
.LBB1_355:                              ;   in Loop: Header=BB1_6 Depth=2
	s_or_b32 exec_lo, exec_lo, s5
	v_and_b32_e32 v7, 4, v0
	s_mov_b32 s5, exec_lo
	v_cmpx_ne_u32_e32 0, v7
	s_cbranch_execz .LBB1_371
; %bb.356:                              ;   in Loop: Header=BB1_6 Depth=2
	s_mov_b32 s6, exec_lo
	v_cmpx_gt_i32_e32 2, v5
	s_cbranch_execz .LBB1_370
; %bb.357:                              ;   in Loop: Header=BB1_6 Depth=2
	v_mov_b32_e32 v7, v5
	s_mov_b32 s7, 0
	s_inst_prefetch 0x1
	s_branch .LBB1_360
	.p2align	6
.LBB1_358:                              ;   in Loop: Header=BB1_360 Depth=3
	s_or_b32 exec_lo, exec_lo, s30
.LBB1_359:                              ;   in Loop: Header=BB1_360 Depth=3
	s_or_b32 exec_lo, exec_lo, s29
	v_add_nc_u32_e32 v26, 1, v7
	v_cmp_lt_i32_e64 s4, 0, v7
	v_mov_b32_e32 v7, v26
	s_or_b32 s7, s4, s7
	s_andn2_b32 exec_lo, exec_lo, s7
	s_cbranch_execz .LBB1_369
.LBB1_360:                              ;   Parent Loop BB1_3 Depth=1
                                        ;     Parent Loop BB1_6 Depth=2
                                        ; =>    This Inner Loop Header: Depth=3
	v_cmp_lt_i32_e64 s4, 0, v7
	v_mov_b32_e32 v26, v6
	s_and_saveexec_b32 s29, s4
	s_xor_b32 s4, exec_lo, s29
; %bb.361:                              ;   in Loop: Header=BB1_360 Depth=3
	v_lshlrev_b32_e32 v26, 2, v6
	v_lshrrev_b32_e32 v27, 2, v6
	v_and_b32_e32 v6, 0xc3c3c3c3, v6
	v_and_b32_e32 v26, 0x30303030, v26
	;; [unrolled: 1-line block ×3, first 2 shown]
	v_or3_b32 v6, v26, v6, v27
                                        ; implicit-def: $vgpr26
; %bb.362:                              ;   in Loop: Header=BB1_360 Depth=3
	s_andn2_saveexec_b32 s29, s4
	s_cbranch_execz .LBB1_359
; %bb.363:                              ;   in Loop: Header=BB1_360 Depth=3
	v_mov_b32_e32 v6, 0
	s_mov_b32 s30, exec_lo
	v_cmpx_eq_u32_e32 0, v7
	s_cbranch_execz .LBB1_358
; %bb.364:                              ;   in Loop: Header=BB1_360 Depth=3
	v_lshlrev_b32_e32 v6, 1, v26
	v_lshrrev_b32_e32 v27, 1, v26
	v_and_b32_e32 v26, 0x99999999, v26
	v_and_b32_e32 v6, 0x44444444, v6
	;; [unrolled: 1-line block ×3, first 2 shown]
	v_or3_b32 v6, v6, v26, v27
	s_branch .LBB1_358
.LBB1_365:                              ;   in Loop: Header=BB1_6 Depth=2
	s_or_saveexec_b32 s4, s31
	s_mov_b32 s31, s29
	s_xor_b32 exec_lo, exec_lo, s4
	s_cbranch_execz .LBB1_339
.LBB1_366:                              ;   in Loop: Header=BB1_6 Depth=2
	s_mov_b32 s34, -1
	s_mov_b32 s31, s33
                                        ; implicit-def: $vgpr10
	s_and_saveexec_b32 s35, vcc_lo
	s_cbranch_execz .LBB1_368
; %bb.367:                              ;   in Loop: Header=BB1_6 Depth=2
	v_lshl_add_u32 v8, v9, 2, v30
	v_add_nc_u32_e32 v10, 1, v9
	s_xor_b32 s34, exec_lo, -1
	s_or_b32 s31, s33, exec_lo
	ds_read_b32 v8, v8 offset:4
	s_waitcnt lgkmcnt(0)
	global_store_dword v[22:23], v8, off offset:16
.LBB1_368:                              ;   in Loop: Header=BB1_6 Depth=2
	s_or_b32 exec_lo, exec_lo, s35
	v_mov_b32_e32 v8, v37
	s_andn2_b32 s35, s29, exec_lo
	s_and_b32 s34, s34, exec_lo
	s_andn2_b32 s33, s33, exec_lo
	s_and_b32 s36, s31, exec_lo
	s_or_b32 s31, s35, s34
	s_or_b32 s33, s33, s36
	s_or_b32 exec_lo, exec_lo, s4
	v_bfrev_b32_e32 v11, 24
	s_and_saveexec_b32 s34, s33
	s_cbranch_execnz .LBB1_340
	s_branch .LBB1_341
.LBB1_369:                              ;   in Loop: Header=BB1_6 Depth=2
	s_inst_prefetch 0x2
	s_or_b32 exec_lo, exec_lo, s7
.LBB1_370:                              ;   in Loop: Header=BB1_6 Depth=2
	s_or_b32 exec_lo, exec_lo, s6
	v_add_nc_u32_e32 v5, -1, v5
.LBB1_371:                              ;   in Loop: Header=BB1_6 Depth=2
	s_or_b32 exec_lo, exec_lo, s5
	v_and_b32_e32 v7, 2, v0
	s_mov_b32 s5, exec_lo
	v_cmpx_ne_u32_e32 0, v7
	s_cbranch_execz .LBB1_375
; %bb.372:                              ;   in Loop: Header=BB1_6 Depth=2
	s_mov_b32 s6, exec_lo
	v_cmpx_gt_i32_e32 1, v5
	s_cbranch_execz .LBB1_374
; %bb.373:                              ;   in Loop: Header=BB1_6 Depth=2
	v_cmp_eq_u32_e64 s4, 0, v5
	v_cndmask_b32_e64 v6, 0, v6, s4
	v_lshlrev_b32_e32 v7, 1, v6
	v_lshrrev_b32_e32 v26, 1, v6
	v_and_b32_e32 v6, 0x99999999, v6
	v_and_b32_e32 v7, 0x44444444, v7
	v_and_b32_e32 v26, 0x22222222, v26
	v_or3_b32 v6, v7, v6, v26
.LBB1_374:                              ;   in Loop: Header=BB1_6 Depth=2
	s_or_b32 exec_lo, exec_lo, s6
	v_add_nc_u32_e32 v5, -1, v5
.LBB1_375:                              ;   in Loop: Header=BB1_6 Depth=2
	s_or_b32 exec_lo, exec_lo, s5
	buffer_store_dword v1, off, s[0:3], 0 offset:116
	buffer_store_dword v2, off, s[0:3], 0 offset:120
	buffer_store_dword v3, off, s[0:3], 0 offset:124
	buffer_store_dword v24, off, s[0:3], 0 offset:128
	buffer_store_dword v25, off, s[0:3], 0 offset:132
	buffer_store_byte v28, off, s[0:3], 0 offset:136
	buffer_store_dword v8, off, s[0:3], 0 offset:144
	buffer_store_dword v9, off, s[0:3], 0 offset:148
	v_mov_b32_e32 v1, 0
	buffer_store_dword v10, off, s[0:3], 0 offset:152
	buffer_store_dword v11, off, s[0:3], 0 offset:156
	;; [unrolled: 1-line block ×3, first 2 shown]
	buffer_store_byte v42, off, s[0:3], 0 offset:164
	s_and_saveexec_b32 s6, vcc_lo
	s_cbranch_execz .LBB1_383
; %bb.376:                              ;   in Loop: Header=BB1_6 Depth=2
	v_cmp_ne_u32_e64 s4, 0, v37
	v_mov_b32_e32 v1, 0
	s_mov_b32 s7, 0
	s_mov_b32 s29, 0
	s_inst_prefetch 0x1
	s_branch .LBB1_378
	.p2align	6
.LBB1_377:                              ;   in Loop: Header=BB1_378 Depth=3
	s_or_b32 exec_lo, exec_lo, s30
	s_add_i32 s29, s29, 1
	v_cmp_eq_u32_e64 s5, s29, v40
	s_or_b32 s7, s5, s7
	s_andn2_b32 exec_lo, exec_lo, s7
	s_cbranch_execz .LBB1_382
.LBB1_378:                              ;   Parent Loop BB1_3 Depth=1
                                        ;     Parent Loop BB1_6 Depth=2
                                        ; =>    This Loop Header: Depth=3
                                        ;         Child Loop BB1_380 Depth 4
	s_and_saveexec_b32 s30, s4
	s_cbranch_execz .LBB1_377
; %bb.379:                              ;   in Loop: Header=BB1_378 Depth=3
	s_lshl_b32 s5, s29, 2
	v_mov_b32_e32 v3, v37
	v_add_nc_u32_e64 v2, 0x8c, s5
	s_lshl_b32 s33, 1, s29
	s_mov_b32 s31, 0
	s_mov_b32 s34, s9
	buffer_load_dword v2, v2, s[0:3], 0 offen offset:4
.LBB1_380:                              ;   Parent Loop BB1_3 Depth=1
                                        ;     Parent Loop BB1_6 Depth=2
                                        ;       Parent Loop BB1_378 Depth=3
                                        ; =>      This Inner Loop Header: Depth=4
	v_mov_b32_e32 v7, s34
	v_add_nc_u32_e32 v3, -1, v3
	s_add_i32 s34, s34, 4
	buffer_load_dword v7, v7, s[0:3], 0 offen
	s_waitcnt vmcnt(0)
	v_cmp_eq_u32_e64 s5, v7, v2
	v_cndmask_b32_e64 v7, 0, s33, s5
	v_cmp_eq_u32_e64 s5, 0, v3
	v_or_b32_e32 v1, v7, v1
	s_or_b32 s31, s5, s31
	s_andn2_b32 exec_lo, exec_lo, s31
	s_cbranch_execnz .LBB1_380
; %bb.381:                              ;   in Loop: Header=BB1_378 Depth=3
	s_or_b32 exec_lo, exec_lo, s31
	s_branch .LBB1_377
.LBB1_382:                              ;   in Loop: Header=BB1_6 Depth=2
	s_inst_prefetch 0x2
	s_or_b32 exec_lo, exec_lo, s7
.LBB1_383:                              ;   in Loop: Header=BB1_6 Depth=2
	s_or_b32 exec_lo, exec_lo, s6
	s_waitcnt vmcnt(0)
	v_cmp_ne_u32_e64 s4, 0, v41
	v_and_b32_e32 v7, 8, v1
	v_add_nc_u32_e32 v2, -1, v37
	s_mov_b32 s5, exec_lo
	v_cndmask_b32_e64 v3, 0, -1, s4
	v_xor_b32_e32 v3, v25, v3
	v_cmpx_ne_u32_e32 0, v7
	s_cbranch_execz .LBB1_399
; %bb.384:                              ;   in Loop: Header=BB1_6 Depth=2
	s_mov_b32 s6, exec_lo
	v_cmpx_gt_u32_e32 4, v37
	s_cbranch_execz .LBB1_398
; %bb.385:                              ;   in Loop: Header=BB1_6 Depth=2
	s_mov_b32 s7, 0
	s_branch .LBB1_388
.LBB1_386:                              ;   in Loop: Header=BB1_388 Depth=3
	s_or_b32 exec_lo, exec_lo, s30
.LBB1_387:                              ;   in Loop: Header=BB1_388 Depth=3
	s_or_b32 exec_lo, exec_lo, s29
	v_add_nc_u32_e32 v2, 1, v2
	v_cmp_lt_u32_e64 s4, 2, v2
	s_or_b32 s7, s4, s7
	s_andn2_b32 exec_lo, exec_lo, s7
	s_cbranch_execz .LBB1_397
.LBB1_388:                              ;   Parent Loop BB1_3 Depth=1
                                        ;     Parent Loop BB1_6 Depth=2
                                        ; =>    This Inner Loop Header: Depth=3
	v_mov_b32_e32 v7, v3
	s_mov_b32 s29, exec_lo
	v_cmpx_lt_i32_e32 0, v2
	s_xor_b32 s29, exec_lo, s29
	s_cbranch_execz .LBB1_394
; %bb.389:                              ;   in Loop: Header=BB1_388 Depth=3
	v_cmp_lt_i32_e64 s4, 1, v2
	s_and_saveexec_b32 s30, s4
	s_xor_b32 s4, exec_lo, s30
; %bb.390:                              ;   in Loop: Header=BB1_388 Depth=3
	v_lshlrev_b32_e32 v7, 4, v3
	v_lshrrev_b32_e32 v8, 4, v3
	v_and_b32_e32 v3, 0xf00ff00f, v3
	v_and_b32_e32 v7, 0xf000f00, v7
	;; [unrolled: 1-line block ×3, first 2 shown]
	v_or3_b32 v3, v7, v3, v8
; %bb.391:                              ;   in Loop: Header=BB1_388 Depth=3
	s_andn2_saveexec_b32 s4, s4
; %bb.392:                              ;   in Loop: Header=BB1_388 Depth=3
	v_lshlrev_b32_e32 v7, 2, v3
	v_lshrrev_b32_e32 v8, 2, v3
	v_and_b32_e32 v3, 0xc3c3c3c3, v3
	v_and_b32_e32 v7, 0x30303030, v7
	;; [unrolled: 1-line block ×3, first 2 shown]
	v_or3_b32 v3, v7, v3, v8
; %bb.393:                              ;   in Loop: Header=BB1_388 Depth=3
	s_or_b32 exec_lo, exec_lo, s4
                                        ; implicit-def: $vgpr7
.LBB1_394:                              ;   in Loop: Header=BB1_388 Depth=3
	s_andn2_saveexec_b32 s29, s29
	s_cbranch_execz .LBB1_387
; %bb.395:                              ;   in Loop: Header=BB1_388 Depth=3
	v_mov_b32_e32 v3, 0
	s_mov_b32 s30, exec_lo
	v_cmpx_eq_u32_e32 0, v2
	s_cbranch_execz .LBB1_386
; %bb.396:                              ;   in Loop: Header=BB1_388 Depth=3
	v_lshlrev_b32_e32 v3, 1, v7
	v_lshrrev_b32_e32 v8, 1, v7
	v_and_b32_e32 v7, 0x99999999, v7
	v_and_b32_e32 v3, 0x44444444, v3
	;; [unrolled: 1-line block ×3, first 2 shown]
	v_or3_b32 v3, v3, v7, v8
	s_branch .LBB1_386
.LBB1_397:                              ;   in Loop: Header=BB1_6 Depth=2
	s_or_b32 exec_lo, exec_lo, s7
.LBB1_398:                              ;   in Loop: Header=BB1_6 Depth=2
	s_or_b32 exec_lo, exec_lo, s6
	v_add_nc_u32_e32 v2, -2, v37
.LBB1_399:                              ;   in Loop: Header=BB1_6 Depth=2
	s_or_b32 exec_lo, exec_lo, s5
	v_and_b32_e32 v7, 4, v1
	s_mov_b32 s5, exec_lo
	v_cmpx_ne_u32_e32 0, v7
	s_cbranch_execz .LBB1_411
; %bb.400:                              ;   in Loop: Header=BB1_6 Depth=2
	s_mov_b32 s6, exec_lo
	v_cmpx_gt_i32_e32 2, v2
	s_cbranch_execz .LBB1_410
; %bb.401:                              ;   in Loop: Header=BB1_6 Depth=2
	v_mov_b32_e32 v7, v2
	s_mov_b32 s7, 0
	s_inst_prefetch 0x1
	s_branch .LBB1_404
	.p2align	6
.LBB1_402:                              ;   in Loop: Header=BB1_404 Depth=3
	s_or_b32 exec_lo, exec_lo, s30
.LBB1_403:                              ;   in Loop: Header=BB1_404 Depth=3
	s_or_b32 exec_lo, exec_lo, s29
	v_add_nc_u32_e32 v8, 1, v7
	v_cmp_lt_i32_e64 s4, 0, v7
	v_mov_b32_e32 v7, v8
	s_or_b32 s7, s4, s7
	s_andn2_b32 exec_lo, exec_lo, s7
	s_cbranch_execz .LBB1_409
.LBB1_404:                              ;   Parent Loop BB1_3 Depth=1
                                        ;     Parent Loop BB1_6 Depth=2
                                        ; =>    This Inner Loop Header: Depth=3
	v_cmp_lt_i32_e64 s4, 0, v7
	v_mov_b32_e32 v8, v3
	s_and_saveexec_b32 s29, s4
	s_xor_b32 s4, exec_lo, s29
; %bb.405:                              ;   in Loop: Header=BB1_404 Depth=3
	v_lshlrev_b32_e32 v8, 2, v3
	v_lshrrev_b32_e32 v9, 2, v3
	v_and_b32_e32 v3, 0xc3c3c3c3, v3
	v_and_b32_e32 v8, 0x30303030, v8
	;; [unrolled: 1-line block ×3, first 2 shown]
	v_or3_b32 v3, v8, v3, v9
                                        ; implicit-def: $vgpr8
; %bb.406:                              ;   in Loop: Header=BB1_404 Depth=3
	s_andn2_saveexec_b32 s29, s4
	s_cbranch_execz .LBB1_403
; %bb.407:                              ;   in Loop: Header=BB1_404 Depth=3
	v_mov_b32_e32 v3, 0
	s_mov_b32 s30, exec_lo
	v_cmpx_eq_u32_e32 0, v7
	s_cbranch_execz .LBB1_402
; %bb.408:                              ;   in Loop: Header=BB1_404 Depth=3
	v_lshlrev_b32_e32 v3, 1, v8
	v_lshrrev_b32_e32 v9, 1, v8
	v_and_b32_e32 v8, 0x99999999, v8
	v_and_b32_e32 v3, 0x44444444, v3
	;; [unrolled: 1-line block ×3, first 2 shown]
	v_or3_b32 v3, v3, v8, v9
	s_branch .LBB1_402
.LBB1_409:                              ;   in Loop: Header=BB1_6 Depth=2
	s_inst_prefetch 0x2
	s_or_b32 exec_lo, exec_lo, s7
.LBB1_410:                              ;   in Loop: Header=BB1_6 Depth=2
	s_or_b32 exec_lo, exec_lo, s6
	v_add_nc_u32_e32 v2, -1, v2
.LBB1_411:                              ;   in Loop: Header=BB1_6 Depth=2
	s_or_b32 exec_lo, exec_lo, s5
	v_and_b32_e32 v7, 2, v1
	s_mov_b32 s5, exec_lo
	v_cmpx_ne_u32_e32 0, v7
	s_cbranch_execz .LBB1_415
; %bb.412:                              ;   in Loop: Header=BB1_6 Depth=2
	s_mov_b32 s6, exec_lo
	v_cmpx_gt_i32_e32 1, v2
	s_cbranch_execz .LBB1_414
; %bb.413:                              ;   in Loop: Header=BB1_6 Depth=2
	v_cmp_eq_u32_e64 s4, 0, v2
	v_cndmask_b32_e64 v3, 0, v3, s4
	v_lshlrev_b32_e32 v7, 1, v3
	v_lshrrev_b32_e32 v8, 1, v3
	v_and_b32_e32 v3, 0x99999999, v3
	v_and_b32_e32 v7, 0x44444444, v7
	;; [unrolled: 1-line block ×3, first 2 shown]
	v_or3_b32 v3, v7, v3, v8
.LBB1_414:                              ;   in Loop: Header=BB1_6 Depth=2
	s_or_b32 exec_lo, exec_lo, s6
	v_add_nc_u32_e32 v2, -1, v2
.LBB1_415:                              ;   in Loop: Header=BB1_6 Depth=2
	s_or_b32 exec_lo, exec_lo, s5
	v_and_b32_e32 v0, 1, v0
	v_and_b32_e32 v1, 1, v1
	v_cmp_gt_i32_e64 s4, 0, v5
	v_cmp_gt_i32_e64 s6, 0, v2
	v_mov_b32_e32 v5, 0
	v_cmp_eq_u32_e64 s5, 1, v0
	v_cmp_eq_u32_e64 s7, 1, v1
	s_and_b32 s4, s5, s4
	v_cndmask_b32_e64 v0, v6, 0, s4
	s_and_b32 s4, s7, s6
	v_mov_b32_e32 v6, 0
	v_cndmask_b32_e64 v1, v3, 0, s4
	v_and_b32_e32 v3, v1, v0
	v_and_b32_e32 v0, 0xffff, v3
	v_bfi_b32 v2, 0xffff, v3, v39
	global_store_dword v[22:23], v2, off offset:20
	s_and_saveexec_b32 s5, vcc_lo
	s_cbranch_execz .LBB1_419
; %bb.416:                              ;   in Loop: Header=BB1_6 Depth=2
	v_mov_b32_e32 v6, 0
	v_mov_b32_e32 v5, v40
	s_mov_b32 s29, 0
	s_mov_b32 s30, 0
	s_getpc_b64 s[6:7]
	s_add_u32 s6, s6, __const._Z18MinimizeCutSupportPN2rw3CutE.masks@rel32@lo+4
	s_addc_u32 s7, s7, __const._Z18MinimizeCutSupportPN2rw3CutE.masks@rel32@hi+12
	.p2align	6
.LBB1_417:                              ;   Parent Loop BB1_3 Depth=1
                                        ;     Parent Loop BB1_6 Depth=2
                                        ; =>    This Inner Loop Header: Depth=3
	s_load_dwordx2 s[34:35], s[6:7], 0x0
	s_lshl_b32 s4, 1, s30
	s_add_i32 s30, s30, 1
	s_add_u32 s6, s6, 8
	s_addc_u32 s7, s7, 0
	s_waitcnt lgkmcnt(0)
	v_and_b32_e32 v1, s35, v0
	v_and_b32_e32 v7, s34, v0
	v_lshrrev_b32_e32 v1, s4, v1
	v_cmp_eq_u32_e32 vcc_lo, v7, v1
	v_cndmask_b32_e64 v1, s4, 0, vcc_lo
	v_cmp_eq_u32_e64 s4, s30, v40
	v_subrev_co_ci_u32_e64 v5, null, 0, v5, vcc_lo
	v_or_b32_e32 v6, v1, v6
	s_or_b32 s29, s4, s29
	s_andn2_b32 exec_lo, exec_lo, s29
	s_cbranch_execnz .LBB1_417
; %bb.418:                              ;   in Loop: Header=BB1_6 Depth=2
	s_or_b32 exec_lo, exec_lo, s29
.LBB1_419:                              ;   in Loop: Header=BB1_6 Depth=2
	s_or_b32 exec_lo, exec_lo, s5
	v_and_b32_e32 v1, 0xffff0000, v39
	s_mov_b32 s7, exec_lo
	v_cmpx_ne_u32_e64 v5, v40
	s_cbranch_execz .LBB1_487
; %bb.420:                              ;   in Loop: Header=BB1_6 Depth=2
	v_and_b32_e32 v7, 2, v6
	v_and_b32_e32 v2, 1, v6
	s_mov_b32 s4, exec_lo
	v_cmpx_ne_u32_e32 0, v7
	s_cbranch_execz .LBB1_422
; %bb.421:                              ;   in Loop: Header=BB1_6 Depth=2
	v_lshlrev_b32_e32 v7, 1, v0
	v_lshrrev_b32_e32 v8, 1, v3
	v_and_b32_e32 v3, 0x9999, v3
	v_cmp_eq_u32_e32 vcc_lo, 0, v2
	v_add_nc_u32_e32 v2, 1, v2
	v_and_b32_e32 v7, 0x4444, v7
	v_and_b32_e32 v8, 0x2222, v8
	v_or3_b32 v3, v8, v3, v7
	v_cndmask_b32_e32 v0, v0, v3, vcc_lo
.LBB1_422:                              ;   in Loop: Header=BB1_6 Depth=2
	s_or_b32 exec_lo, exec_lo, s4
	v_and_b32_e32 v3, 4, v6
	s_mov_b32 s4, exec_lo
	v_cmpx_ne_u32_e32 0, v3
	s_cbranch_execz .LBB1_426
; %bb.423:                              ;   in Loop: Header=BB1_6 Depth=2
	s_mov_b32 s5, exec_lo
	v_cmpx_gt_u32_e32 2, v2
	s_cbranch_execz .LBB1_425
; %bb.424:                              ;   in Loop: Header=BB1_6 Depth=2
	v_and_b32_e32 v3, 0xc3c3, v0
	v_lshlrev_b32_e32 v7, 2, v0
	v_lshrrev_b32_e32 v0, 2, v0
	v_cmp_eq_u32_e32 vcc_lo, 0, v2
	v_and_or_b32 v3, 0x3030, v7, v3
	v_and_or_b32 v0, 0xc0c, v0, v3
	v_lshlrev_b32_e32 v3, 1, v3
	v_lshrrev_b32_e32 v7, 1, v0
	v_and_b32_e32 v3, 0x4444, v3
	v_and_b32_e32 v8, 0x9999, v0
	;; [unrolled: 1-line block ×3, first 2 shown]
	v_or3_b32 v3, v3, v8, v7
	v_cndmask_b32_e32 v0, v0, v3, vcc_lo
.LBB1_425:                              ;   in Loop: Header=BB1_6 Depth=2
	s_or_b32 exec_lo, exec_lo, s5
	v_add_nc_u32_e32 v2, 1, v2
.LBB1_426:                              ;   in Loop: Header=BB1_6 Depth=2
	s_or_b32 exec_lo, exec_lo, s4
	v_and_b32_e32 v3, 8, v6
	v_cmp_gt_u32_e64 s4, 3, v2
	v_cmp_ne_u32_e32 vcc_lo, 0, v3
	s_and_b32 s5, vcc_lo, s4
	s_and_saveexec_b32 s4, s5
	s_cbranch_execz .LBB1_437
; %bb.427:                              ;   in Loop: Header=BB1_6 Depth=2
	s_mov_b32 s6, 3
	s_mov_b32 s5, 0
	s_inst_prefetch 0x1
	s_branch .LBB1_430
	.p2align	6
.LBB1_428:                              ;   in Loop: Header=BB1_430 Depth=3
	s_mov_b32 s30, 0xf000f0
	s_mov_b32 s33, 0xf000f00
	;; [unrolled: 1-line block ×4, first 2 shown]
.LBB1_429:                              ;   in Loop: Header=BB1_430 Depth=3
	v_lshlrev_b32_e32 v3, s29, v0
	v_lshrrev_b32_e32 v7, s29, v0
	v_and_b32_e32 v0, s31, v0
	s_add_i32 s6, s6, -1
	v_cmp_le_u32_e32 vcc_lo, s6, v2
	v_and_b32_e32 v3, s33, v3
	v_and_b32_e32 v7, s30, v7
	s_or_b32 s5, vcc_lo, s5
	v_or3_b32 v0, v3, v0, v7
	s_andn2_b32 exec_lo, exec_lo, s5
	s_cbranch_execz .LBB1_436
.LBB1_430:                              ;   Parent Loop BB1_3 Depth=1
                                        ;     Parent Loop BB1_6 Depth=2
                                        ; =>    This Inner Loop Header: Depth=3
	s_cmp_gt_i32 s6, 2
	s_cbranch_scc1 .LBB1_428
; %bb.431:                              ;   in Loop: Header=BB1_430 Depth=3
	s_cmp_lg_u32 s6, 2
	s_mov_b32 s29, -1
	s_cbranch_scc0 .LBB1_433
; %bb.432:                              ;   in Loop: Header=BB1_430 Depth=3
	s_mov_b32 s29, 0
.LBB1_433:                              ;   in Loop: Header=BB1_430 Depth=3
	s_andn2_b32 vcc_lo, exec_lo, s29
	s_mov_b32 s29, 1
	s_cbranch_vccnz .LBB1_435
; %bb.434:                              ;   in Loop: Header=BB1_430 Depth=3
	s_mov_b32 s31, 0xc3c3c3c3
	s_mov_b32 s29, 2
	;; [unrolled: 1-line block ×4, first 2 shown]
	s_branch .LBB1_429
.LBB1_435:                              ;   in Loop: Header=BB1_430 Depth=3
	s_mov_b32 s31, 0x99999999
	s_mov_b32 s33, 0x44444444
	;; [unrolled: 1-line block ×3, first 2 shown]
	s_branch .LBB1_429
.LBB1_436:                              ;   in Loop: Header=BB1_6 Depth=2
	s_inst_prefetch 0x2
	s_or_b32 exec_lo, exec_lo, s5
.LBB1_437:                              ;   in Loop: Header=BB1_6 Depth=2
	s_or_b32 exec_lo, exec_lo, s4
	v_and_b32_e32 v2, 0x78000000, v39
	v_and_or_b32 v7, 0xffff, v0, v1
	v_mov_b32_e32 v3, 0
	s_mov_b32 s5, exec_lo
	global_store_dword v[22:23], v7, off offset:20
	global_store_dword v[22:23], v3, off
	v_cmpx_ne_u32_e32 0, v2
	s_cbranch_execz .LBB1_443
; %bb.438:                              ;   in Loop: Header=BB1_6 Depth=2
	v_mad_i64_i32 v[0:1], null, v4, 28, v[18:19]
	v_mov_b32_e32 v3, 0
	v_mov_b32_e32 v2, 0
	s_mov_b32 s6, 0
	s_mov_b32 s29, 0
	s_inst_prefetch 0x1
	s_branch .LBB1_440
	.p2align	6
.LBB1_439:                              ;   in Loop: Header=BB1_440 Depth=3
	s_or_b32 exec_lo, exec_lo, s4
	s_waitcnt vmcnt(0)
	v_bfe_u32 v8, v7, 27, 4
	s_add_i32 s29, s29, 1
	v_add_co_u32 v0, s4, v0, 4
	v_add_co_ci_u32_e64 v1, null, 0, v1, s4
	v_cmp_ge_u32_e32 vcc_lo, s29, v8
	s_or_b32 s6, vcc_lo, s6
	s_andn2_b32 exec_lo, exec_lo, s6
	s_cbranch_execz .LBB1_442
.LBB1_440:                              ;   Parent Loop BB1_3 Depth=1
                                        ;     Parent Loop BB1_6 Depth=2
                                        ; =>    This Inner Loop Header: Depth=3
	v_lshrrev_b32_e32 v8, s29, v6
	s_mov_b32 s4, exec_lo
	v_and_b32_e32 v8, 1, v8
	v_cmpx_eq_u32_e32 1, v8
	s_cbranch_execz .LBB1_439
; %bb.441:                              ;   in Loop: Header=BB1_440 Depth=3
	global_load_dword v9, v[0:1], off
	v_ashrrev_i32_e32 v3, 31, v2
	v_lshlrev_b64 v[7:8], 2, v[2:3]
	v_add_nc_u32_e32 v2, 1, v2
	v_add_co_u32 v7, vcc_lo, v22, v7
	v_add_co_ci_u32_e64 v8, null, v23, v8, vcc_lo
	s_waitcnt vmcnt(0)
	global_store_dword v[7:8], v9, off offset:4
	s_clause 0x1
	global_load_dword v3, v[22:23], off
	global_load_dword v7, v[22:23], off offset:20
	s_waitcnt vmcnt(1)
	v_lshl_or_b32 v3, 1, v9, v3
	global_store_dword v[22:23], v3, off
	s_branch .LBB1_439
.LBB1_442:                              ;   in Loop: Header=BB1_6 Depth=2
	s_inst_prefetch 0x2
	s_or_b32 exec_lo, exec_lo, s6
.LBB1_443:                              ;   in Loop: Header=BB1_6 Depth=2
	s_or_b32 exec_lo, exec_lo, s5
	v_lshlrev_b32_e32 v0, 27, v5
	v_and_b32_e32 v5, 15, v5
	s_mov_b32 s29, 0
	s_mov_b32 s30, 0
                                        ; implicit-def: $sgpr31
                                        ; implicit-def: $sgpr33
	v_bfi_b32 v2, 0x87ffffff, v7, v0
	v_cmp_ne_u32_e32 vcc_lo, 0, v5
	global_store_dword v[22:23], v2, off offset:20
	s_branch .LBB1_445
.LBB1_444:                              ;   in Loop: Header=BB1_445 Depth=3
	s_or_b32 exec_lo, exec_lo, s6
	s_and_b32 s4, exec_lo, s5
	s_or_b32 s29, s4, s29
	s_andn2_b32 s4, s31, exec_lo
	s_and_b32 s5, s33, exec_lo
	s_or_b32 s31, s4, s5
	s_andn2_b32 exec_lo, exec_lo, s29
	s_cbranch_execz .LBB1_484
.LBB1_445:                              ;   Parent Loop BB1_3 Depth=1
                                        ;     Parent Loop BB1_6 Depth=2
                                        ; =>    This Loop Header: Depth=3
                                        ;         Child Loop BB1_453 Depth 4
                                        ;           Child Loop BB1_454 Depth 5
                                        ;         Child Loop BB1_469 Depth 4
                                        ;           Child Loop BB1_470 Depth 5
	v_cmp_eq_u32_e64 s4, s30, v4
	s_mov_b32 s34, exec_lo
	v_cmpx_ne_u32_e64 s30, v4
	s_cbranch_execz .LBB1_482
; %bb.446:                              ;   in Loop: Header=BB1_445 Depth=3
	v_mad_u64_u32 v[0:1], null, s30, 28, v[12:13]
	s_mov_b32 s6, -1
	s_mov_b32 s35, exec_lo
	global_load_ubyte v6, v[0:1], off offset:24
	s_waitcnt vmcnt(0)
	v_and_b32_e32 v6, 1, v6
	v_cmpx_eq_u32_e32 1, v6
	s_cbranch_execz .LBB1_481
; %bb.447:                              ;   in Loop: Header=BB1_445 Depth=3
	s_clause 0x1
	global_load_dword v7, v[0:1], off offset:20
	global_load_dword v9, v[0:1], off
	s_mov_b32 s36, 0
	s_mov_b32 s6, exec_lo
	s_waitcnt vmcnt(1)
	v_bfe_u32 v6, v7, 27, 4
	s_waitcnt vmcnt(0)
	v_and_b32_e32 v8, v3, v9
	v_cmpx_le_u32_e64 v6, v5
	s_xor_b32 s37, exec_lo, s6
	s_cbranch_execz .LBB1_463
; %bb.448:                              ;   in Loop: Header=BB1_445 Depth=3
	s_mov_b32 s6, -1
	s_mov_b32 s36, exec_lo
	v_cmpx_eq_u32_e64 v8, v9
	s_cbranch_execz .LBB1_462
; %bb.449:                              ;   in Loop: Header=BB1_445 Depth=3
	s_clause 0x2
	global_load_dwordx4 v[8:11], v[22:23], off
	global_load_dwordx4 v[24:27], v[22:23], off offset:12
	global_load_dwordx4 v[36:39], v[0:1], off offset:4
	s_mov_b32 s6, 0
	s_mov_b32 s38, exec_lo
	buffer_store_dword v7, off, s[0:3], 0 offset:20
	s_waitcnt vmcnt(2)
	buffer_store_dword v11, off, s[0:3], 0 offset:40
	buffer_store_dword v10, off, s[0:3], 0 offset:36
	buffer_store_dword v9, off, s[0:3], 0 offset:32
	buffer_store_dword v8, off, s[0:3], 0 offset:28
	s_waitcnt vmcnt(1)
	buffer_store_dword v27, off, s[0:3], 0 offset:52
	buffer_store_dword v26, off, s[0:3], 0 offset:48
	buffer_store_dword v25, off, s[0:3], 0 offset:44
	;; [unrolled: 5-line block ×3, first 2 shown]
	buffer_store_dword v39, off, s[0:3], 0 offset:16
	buffer_store_byte v28, off, s[0:3], 0 offset:24
	v_cmpx_ne_u32_e32 0, v6
	s_cbranch_execz .LBB1_461
; %bb.450:                              ;   in Loop: Header=BB1_445 Depth=3
	buffer_load_dword v0, off, s[0:3], 0 offset:48
	s_mov_b32 s6, -1
	s_mov_b32 s39, exec_lo
	s_waitcnt vmcnt(0)
	v_bfe_u32 v0, v0, 27, 4
	v_cmpx_ne_u32_e32 0, v0
	s_cbranch_execz .LBB1_458
; %bb.451:                              ;   in Loop: Header=BB1_445 Depth=3
	s_mov_b32 s40, 0
	s_mov_b32 s41, 0
                                        ; implicit-def: $sgpr42
                                        ; implicit-def: $sgpr43
	s_inst_prefetch 0x1
	s_branch .LBB1_453
	.p2align	6
.LBB1_452:                              ;   in Loop: Header=BB1_453 Depth=4
	s_or_b32 exec_lo, exec_lo, s44
	s_and_b32 s5, exec_lo, s6
	s_or_b32 s40, s5, s40
	s_andn2_b32 s5, s42, exec_lo
	s_and_b32 s6, s43, exec_lo
	s_or_b32 s42, s5, s6
	s_andn2_b32 exec_lo, exec_lo, s40
	s_cbranch_execz .LBB1_457
.LBB1_453:                              ;   Parent Loop BB1_3 Depth=1
                                        ;     Parent Loop BB1_6 Depth=2
                                        ;       Parent Loop BB1_445 Depth=3
                                        ; =>      This Loop Header: Depth=4
                                        ;           Child Loop BB1_454 Depth 5
	s_lshl_b32 s5, s41, 2
	v_mov_b32_e32 v8, v0
	v_mov_b32_e32 v1, s5
	s_mov_b32 s44, 0
	s_mov_b32 s45, s20
	buffer_load_dword v7, v1, s[0:3], 0 offen offset:4
	v_mov_b32_e32 v1, 0
.LBB1_454:                              ;   Parent Loop BB1_3 Depth=1
                                        ;     Parent Loop BB1_6 Depth=2
                                        ;       Parent Loop BB1_445 Depth=3
                                        ;         Parent Loop BB1_453 Depth=4
                                        ; =>        This Inner Loop Header: Depth=5
	v_mov_b32_e32 v9, s45
	v_add_nc_u32_e32 v8, -1, v8
	s_add_i32 s45, s45, 4
	buffer_load_dword v9, v9, s[0:3], 0 offen
	v_cmp_eq_u32_e64 s5, 0, v8
	s_or_b32 s44, s5, s44
	s_waitcnt vmcnt(0)
	v_cmp_ne_u32_e64 s6, v9, v7
	v_cndmask_b32_e64 v1, 1, v1, s6
	s_andn2_b32 exec_lo, exec_lo, s44
	s_cbranch_execnz .LBB1_454
; %bb.455:                              ;   in Loop: Header=BB1_453 Depth=4
	s_or_b32 exec_lo, exec_lo, s44
	s_mov_b32 s6, -1
	s_or_b32 s43, s43, exec_lo
	s_mov_b32 s44, exec_lo
	v_cmpx_ne_u32_e32 0, v1
	s_cbranch_execz .LBB1_452
; %bb.456:                              ;   in Loop: Header=BB1_453 Depth=4
	s_add_i32 s41, s41, 1
	s_andn2_b32 s43, s43, exec_lo
	v_cmp_eq_u32_e64 s5, s41, v6
	s_orn2_b32 s6, s5, exec_lo
	s_branch .LBB1_452
.LBB1_457:                              ;   in Loop: Header=BB1_445 Depth=3
	s_inst_prefetch 0x2
	s_or_b32 exec_lo, exec_lo, s40
	s_orn2_b32 s6, s42, exec_lo
.LBB1_458:                              ;   in Loop: Header=BB1_445 Depth=3
	s_or_b32 exec_lo, exec_lo, s39
	s_mov_b32 s5, 0
	s_and_saveexec_b32 s39, s6
	s_xor_b32 s6, exec_lo, s39
; %bb.459:                              ;   in Loop: Header=BB1_445 Depth=3
	s_mov_b32 s5, exec_lo
; %bb.460:                              ;   in Loop: Header=BB1_445 Depth=3
	s_or_b32 exec_lo, exec_lo, s6
	s_and_b32 s6, s5, exec_lo
.LBB1_461:                              ;   in Loop: Header=BB1_445 Depth=3
	s_or_b32 exec_lo, exec_lo, s38
	s_orn2_b32 s6, s6, exec_lo
.LBB1_462:                              ;   in Loop: Header=BB1_445 Depth=3
	s_or_b32 exec_lo, exec_lo, s36
	s_and_b32 s36, s6, exec_lo
                                        ; implicit-def: $vgpr8
                                        ; implicit-def: $vgpr0_vgpr1
.LBB1_463:                              ;   in Loop: Header=BB1_445 Depth=3
	s_andn2_saveexec_b32 s37, s37
	s_cbranch_execz .LBB1_480
; %bb.464:                              ;   in Loop: Header=BB1_445 Depth=3
	s_mov_b32 s38, exec_lo
	v_cmpx_eq_u32_e64 v8, v3
	s_cbranch_execz .LBB1_479
; %bb.465:                              ;   in Loop: Header=BB1_445 Depth=3
	s_clause 0x3
	global_load_dwordx4 v[6:9], v[0:1], off
	global_load_dwordx4 v[24:27], v[0:1], off offset:12
	global_load_dwordx4 v[36:39], v[22:23], off offset:4
	global_load_ubyte v10, v[22:23], off offset:24
	s_mov_b32 s5, -1
	buffer_store_dword v2, off, s[0:3], 0 offset:76
	s_waitcnt vmcnt(3)
	buffer_store_dword v9, off, s[0:3], 0 offset:96
	buffer_store_dword v8, off, s[0:3], 0 offset:92
	buffer_store_dword v7, off, s[0:3], 0 offset:88
	buffer_store_dword v6, off, s[0:3], 0 offset:84
	s_waitcnt vmcnt(2)
	buffer_store_dword v27, off, s[0:3], 0 offset:108
	buffer_store_dword v26, off, s[0:3], 0 offset:104
	buffer_store_dword v25, off, s[0:3], 0 offset:100
	;; [unrolled: 5-line block ×3, first 2 shown]
	buffer_store_dword v39, off, s[0:3], 0 offset:72
	s_waitcnt vmcnt(0)
	buffer_store_byte v10, off, s[0:3], 0 offset:80
	s_and_saveexec_b32 s39, vcc_lo
	s_cbranch_execz .LBB1_477
; %bb.466:                              ;   in Loop: Header=BB1_445 Depth=3
	buffer_load_dword v6, off, s[0:3], 0 offset:104
	s_mov_b32 s41, -1
	s_mov_b32 s6, 0
	s_mov_b32 s40, exec_lo
	s_waitcnt vmcnt(0)
	v_bfe_u32 v6, v6, 27, 4
	v_cmpx_ne_u32_e32 0, v6
	s_cbranch_execz .LBB1_474
; %bb.467:                              ;   in Loop: Header=BB1_445 Depth=3
	s_mov_b32 s41, 0
	s_mov_b32 s43, 0
                                        ; implicit-def: $sgpr42
                                        ; implicit-def: $sgpr44
	s_inst_prefetch 0x1
	s_branch .LBB1_469
	.p2align	6
.LBB1_468:                              ;   in Loop: Header=BB1_469 Depth=4
	s_or_b32 exec_lo, exec_lo, s45
	s_and_b32 s5, exec_lo, s6
	s_or_b32 s41, s5, s41
	s_andn2_b32 s5, s42, exec_lo
	s_and_b32 s6, s44, exec_lo
	s_or_b32 s42, s5, s6
	s_andn2_b32 exec_lo, exec_lo, s41
	s_cbranch_execz .LBB1_473
.LBB1_469:                              ;   Parent Loop BB1_3 Depth=1
                                        ;     Parent Loop BB1_6 Depth=2
                                        ;       Parent Loop BB1_445 Depth=3
                                        ; =>      This Loop Header: Depth=4
                                        ;           Child Loop BB1_470 Depth 5
	s_lshl_b32 s5, s43, 2
	v_mov_b32_e32 v9, v6
	v_add_nc_u32_e64 v7, s5, 56
	s_mov_b32 s45, 0
	s_mov_b32 s46, s12
	buffer_load_dword v8, v7, s[0:3], 0 offen offset:4
	v_mov_b32_e32 v7, 0
.LBB1_470:                              ;   Parent Loop BB1_3 Depth=1
                                        ;     Parent Loop BB1_6 Depth=2
                                        ;       Parent Loop BB1_445 Depth=3
                                        ;         Parent Loop BB1_469 Depth=4
                                        ; =>        This Inner Loop Header: Depth=5
	v_mov_b32_e32 v10, s46
	v_add_nc_u32_e32 v9, -1, v9
	s_add_i32 s46, s46, 4
	buffer_load_dword v10, v10, s[0:3], 0 offen
	v_cmp_eq_u32_e64 s5, 0, v9
	s_or_b32 s45, s5, s45
	s_waitcnt vmcnt(0)
	v_cmp_ne_u32_e64 s6, v10, v8
	v_cndmask_b32_e64 v7, 1, v7, s6
	s_andn2_b32 exec_lo, exec_lo, s45
	s_cbranch_execnz .LBB1_470
; %bb.471:                              ;   in Loop: Header=BB1_469 Depth=4
	s_or_b32 exec_lo, exec_lo, s45
	s_mov_b32 s6, -1
	s_or_b32 s44, s44, exec_lo
	s_mov_b32 s45, exec_lo
	v_cmpx_ne_u32_e32 0, v7
	s_cbranch_execz .LBB1_468
; %bb.472:                              ;   in Loop: Header=BB1_469 Depth=4
	s_add_i32 s43, s43, 1
	s_andn2_b32 s44, s44, exec_lo
	v_cmp_eq_u32_e64 s5, s43, v5
	s_orn2_b32 s6, s5, exec_lo
	s_branch .LBB1_468
.LBB1_473:                              ;   in Loop: Header=BB1_445 Depth=3
	s_inst_prefetch 0x2
	s_or_b32 exec_lo, exec_lo, s41
	s_mov_b32 s6, exec_lo
	s_orn2_b32 s41, s42, exec_lo
.LBB1_474:                              ;   in Loop: Header=BB1_445 Depth=3
	s_or_b32 exec_lo, exec_lo, s40
	s_and_saveexec_b32 s5, s41
; %bb.475:                              ;   in Loop: Header=BB1_445 Depth=3
	s_andn2_b32 s6, s6, exec_lo
; %bb.476:                              ;   in Loop: Header=BB1_445 Depth=3
	s_or_b32 exec_lo, exec_lo, s5
	s_orn2_b32 s5, s6, exec_lo
.LBB1_477:                              ;   in Loop: Header=BB1_445 Depth=3
	s_or_b32 exec_lo, exec_lo, s39
	s_and_b32 exec_lo, exec_lo, s5
	s_cbranch_execz .LBB1_479
; %bb.478:                              ;   in Loop: Header=BB1_445 Depth=3
	global_store_byte v[0:1], v35, off offset:24
.LBB1_479:                              ;   in Loop: Header=BB1_445 Depth=3
	s_or_b32 exec_lo, exec_lo, s38
	s_or_b32 s36, s36, exec_lo
.LBB1_480:                              ;   in Loop: Header=BB1_445 Depth=3
	s_or_b32 exec_lo, exec_lo, s37
	s_orn2_b32 s6, s36, exec_lo
.LBB1_481:                              ;   in Loop: Header=BB1_445 Depth=3
	s_or_b32 exec_lo, exec_lo, s35
	s_andn2_b32 s4, s4, exec_lo
	s_and_b32 s5, s6, exec_lo
	s_or_b32 s4, s4, s5
.LBB1_482:                              ;   in Loop: Header=BB1_445 Depth=3
	s_or_b32 exec_lo, exec_lo, s34
	s_mov_b32 s5, -1
	s_or_b32 s33, s33, exec_lo
	s_and_saveexec_b32 s6, s4
	s_cbranch_execz .LBB1_444
; %bb.483:                              ;   in Loop: Header=BB1_445 Depth=3
	s_add_i32 s30, s30, 1
	s_cmp_eq_u32 s30, 8
	s_cselect_b32 s4, -1, 0
	s_andn2_b32 s33, s33, exec_lo
	s_orn2_b32 s5, s4, exec_lo
	s_branch .LBB1_444
.LBB1_484:                              ;   in Loop: Header=BB1_6 Depth=2
	s_or_b32 exec_lo, exec_lo, s29
	s_and_saveexec_b32 s4, s31
	s_xor_b32 s4, exec_lo, s4
	s_cbranch_execz .LBB1_486
; %bb.485:                              ;   in Loop: Header=BB1_6 Depth=2
	global_store_byte v[22:23], v35, off offset:24
.LBB1_486:                              ;   in Loop: Header=BB1_6 Depth=2
	s_or_b32 exec_lo, exec_lo, s4
.LBB1_487:                              ;   in Loop: Header=BB1_6 Depth=2
	s_or_b32 exec_lo, exec_lo, s7
	v_bfe_u32 v3, v2, 27, 4
	v_mov_b32_e32 v5, 0
	v_mov_b32_e32 v0, 0
	s_mov_b32 s5, exec_lo
	v_cmpx_ne_u32_e32 0, v3
	s_cbranch_execz .LBB1_491
; %bb.488:                              ;   in Loop: Header=BB1_6 Depth=2
	v_mad_i64_i32 v[0:1], null, v4, 28, v[18:19]
	v_mov_b32_e32 v5, 0
	v_mov_b32_e32 v4, 0
	;; [unrolled: 1-line block ×3, first 2 shown]
	s_mov_b32 s6, 0
	.p2align	6
.LBB1_489:                              ;   Parent Loop BB1_3 Depth=1
                                        ;     Parent Loop BB1_6 Depth=2
                                        ; =>    This Inner Loop Header: Depth=3
	global_load_dword v7, v[0:1], off
	v_add_nc_u32_e32 v6, -1, v6
	s_waitcnt vmcnt(0)
	v_ashrrev_i32_e32 v8, 31, v7
	v_lshlrev_b64 v[7:8], 2, v[7:8]
	v_add_co_u32 v7, vcc_lo, s16, v7
	v_add_co_ci_u32_e64 v8, null, s17, v8, vcc_lo
	v_add_co_u32 v0, vcc_lo, v0, 4
	v_add_co_ci_u32_e64 v1, null, 0, v1, vcc_lo
	global_load_dword v7, v[7:8], off
	v_cmp_eq_u32_e32 vcc_lo, 0, v6
	s_or_b32 s6, vcc_lo, s6
	s_waitcnt vmcnt(0)
	v_cmp_eq_u32_e64 s4, 1, v7
	v_add_nc_u32_e32 v4, v7, v4
	v_add_co_ci_u32_e64 v5, null, 0, v5, s4
	s_andn2_b32 exec_lo, exec_lo, s6
	s_cbranch_execnz .LBB1_489
; %bb.490:                              ;   in Loop: Header=BB1_6 Depth=2
	s_or_b32 exec_lo, exec_lo, s6
	v_min_i32_e32 v0, 0x3e8, v4
.LBB1_491:                              ;   in Loop: Header=BB1_6 Depth=2
	s_or_b32 exec_lo, exec_lo, s5
	v_cmp_lt_u32_e32 vcc_lo, 3, v5
	v_sub_nc_u32_e32 v1, 5, v5
	v_cndmask_b32_sdwa v0, v0, v1, vcc_lo dst_sel:WORD_1 dst_unused:UNUSED_PAD src0_sel:DWORD src1_sel:DWORD
	v_cmp_lt_u32_e32 vcc_lo, 1, v3
	v_and_b32_e32 v1, 0x70000000, v2
	v_and_b32_e32 v0, 0x7ff0000, v0
	v_cndmask_b32_e32 v0, 0x3e90000, v0, vcc_lo
	v_cmp_eq_u32_e32 vcc_lo, 0, v1
	v_and_or_b32 v0, 0xf800ffff, v2, v0
	v_cndmask_b32_e64 v8, 0, 1, vcc_lo
	global_store_dword v[22:23], v0, off offset:20
                                        ; implicit-def: $vgpr22_vgpr23
.LBB1_492:                              ;   in Loop: Header=BB1_6 Depth=2
	s_andn2_saveexec_b32 s4, s28
	s_cbranch_execz .LBB1_494
; %bb.493:                              ;   in Loop: Header=BB1_6 Depth=2
	v_mov_b32_e32 v8, 7
	global_store_byte v[22:23], v35, off offset:24
.LBB1_494:                              ;   in Loop: Header=BB1_6 Depth=2
	s_or_b32 exec_lo, exec_lo, s4
.LBB1_495:                              ;   in Loop: Header=BB1_6 Depth=2
	s_or_b32 exec_lo, exec_lo, s27
.LBB1_496:                              ;   in Loop: Header=BB1_6 Depth=2
	s_or_b32 exec_lo, exec_lo, s26
	s_mov_b32 s4, -1
	s_mov_b32 s5, exec_lo
	v_cmpx_gt_i32_e32 7, v8
; %bb.497:                              ;   in Loop: Header=BB1_6 Depth=2
	v_cmp_eq_u32_e32 vcc_lo, 0, v8
	s_orn2_b32 s4, vcc_lo, exec_lo
; %bb.498:                              ;   in Loop: Header=BB1_6 Depth=2
	s_or_b32 exec_lo, exec_lo, s5
	s_orn2_b32 s6, s4, exec_lo
.LBB1_499:                              ;   in Loop: Header=BB1_6 Depth=2
	s_or_b32 exec_lo, exec_lo, s25
	s_mov_b32 s4, -1
	s_and_saveexec_b32 s5, s6
	s_cbranch_execz .LBB1_5
; %bb.500:                              ;   in Loop: Header=BB1_6 Depth=2
	s_add_i32 s22, s22, 1
	s_cmp_eq_u32 s22, 8
	s_cselect_b32 s6, -1, 0
	s_xor_b32 s4, exec_lo, -1
	s_orn2_b32 s24, s6, exec_lo
	s_branch .LBB1_5
.LBB1_501:                              ;   in Loop: Header=BB1_3 Depth=1
	s_or_b32 exec_lo, exec_lo, s21
	s_orn2_b32 s4, s23, exec_lo
.LBB1_502:                              ;   in Loop: Header=BB1_3 Depth=1
	s_or_b32 exec_lo, exec_lo, s15
	s_mov_b32 s5, -1
	s_and_saveexec_b32 s6, s4
	s_cbranch_execz .LBB1_2
; %bb.503:                              ;   in Loop: Header=BB1_3 Depth=1
	s_add_i32 s14, s14, 1
	s_cmp_eq_u32 s14, 8
	s_cselect_b32 s4, -1, 0
	s_orn2_b32 s5, s4, exec_lo
	s_branch .LBB1_2
.LBB1_504:
	s_endpgm
	.section	.rodata,"a",@progbits
	.p2align	6, 0x0
	.amdhsa_kernel _Z12CutEnumeratePiS_S_S_S_PN2rw3CutEii
		.amdhsa_group_segment_fixed_size 60416
		.amdhsa_private_segment_fixed_size 340
		.amdhsa_kernarg_size 312
		.amdhsa_user_sgpr_count 8
		.amdhsa_user_sgpr_private_segment_buffer 1
		.amdhsa_user_sgpr_dispatch_ptr 1
		.amdhsa_user_sgpr_queue_ptr 0
		.amdhsa_user_sgpr_kernarg_segment_ptr 1
		.amdhsa_user_sgpr_dispatch_id 0
		.amdhsa_user_sgpr_flat_scratch_init 0
		.amdhsa_user_sgpr_private_segment_size 0
		.amdhsa_wavefront_size32 1
		.amdhsa_uses_dynamic_stack 0
		.amdhsa_system_sgpr_private_segment_wavefront_offset 1
		.amdhsa_system_sgpr_workgroup_id_x 1
		.amdhsa_system_sgpr_workgroup_id_y 0
		.amdhsa_system_sgpr_workgroup_id_z 0
		.amdhsa_system_sgpr_workgroup_info 0
		.amdhsa_system_vgpr_workitem_id 2
		.amdhsa_next_free_vgpr 53
		.amdhsa_next_free_sgpr 47
		.amdhsa_reserve_vcc 1
		.amdhsa_reserve_flat_scratch 0
		.amdhsa_float_round_mode_32 0
		.amdhsa_float_round_mode_16_64 0
		.amdhsa_float_denorm_mode_32 3
		.amdhsa_float_denorm_mode_16_64 3
		.amdhsa_dx10_clamp 1
		.amdhsa_ieee_mode 1
		.amdhsa_fp16_overflow 0
		.amdhsa_workgroup_processor_mode 1
		.amdhsa_memory_ordered 1
		.amdhsa_forward_progress 1
		.amdhsa_shared_vgpr_count 0
		.amdhsa_exception_fp_ieee_invalid_op 0
		.amdhsa_exception_fp_denorm_src 0
		.amdhsa_exception_fp_ieee_div_zero 0
		.amdhsa_exception_fp_ieee_overflow 0
		.amdhsa_exception_fp_ieee_underflow 0
		.amdhsa_exception_fp_ieee_inexact 0
		.amdhsa_exception_int_div_zero 0
	.end_amdhsa_kernel
	.text
.Lfunc_end1:
	.size	_Z12CutEnumeratePiS_S_S_S_PN2rw3CutEii, .Lfunc_end1-_Z12CutEnumeratePiS_S_S_S_PN2rw3CutEii
                                        ; -- End function
	.set _Z12CutEnumeratePiS_S_S_S_PN2rw3CutEii.num_vgpr, 53
	.set _Z12CutEnumeratePiS_S_S_S_PN2rw3CutEii.num_agpr, 0
	.set _Z12CutEnumeratePiS_S_S_S_PN2rw3CutEii.numbered_sgpr, 47
	.set _Z12CutEnumeratePiS_S_S_S_PN2rw3CutEii.num_named_barrier, 0
	.set _Z12CutEnumeratePiS_S_S_S_PN2rw3CutEii.private_seg_size, 340
	.set _Z12CutEnumeratePiS_S_S_S_PN2rw3CutEii.uses_vcc, 1
	.set _Z12CutEnumeratePiS_S_S_S_PN2rw3CutEii.uses_flat_scratch, 0
	.set _Z12CutEnumeratePiS_S_S_S_PN2rw3CutEii.has_dyn_sized_stack, 0
	.set _Z12CutEnumeratePiS_S_S_S_PN2rw3CutEii.has_recursion, 0
	.set _Z12CutEnumeratePiS_S_S_S_PN2rw3CutEii.has_indirect_call, 0
	.section	.AMDGPU.csdata,"",@progbits
; Kernel info:
; codeLenInByte = 12764
; TotalNumSgprs: 49
; NumVgprs: 53
; ScratchSize: 340
; MemoryBound: 0
; FloatMode: 240
; IeeeMode: 1
; LDSByteSize: 60416 bytes/workgroup (compile time only)
; SGPRBlocks: 0
; VGPRBlocks: 6
; NumSGPRsForWavesPerEU: 49
; NumVGPRsForWavesPerEU: 53
; Occupancy: 16
; WaveLimiterHint : 1
; COMPUTE_PGM_RSRC2:SCRATCH_EN: 1
; COMPUTE_PGM_RSRC2:USER_SGPR: 8
; COMPUTE_PGM_RSRC2:TRAP_HANDLER: 0
; COMPUTE_PGM_RSRC2:TGID_X_EN: 1
; COMPUTE_PGM_RSRC2:TGID_Y_EN: 0
; COMPUTE_PGM_RSRC2:TGID_Z_EN: 0
; COMPUTE_PGM_RSRC2:TIDIG_COMP_CNT: 2
	.text
	.p2align	2                               ; -- Begin function _Z8CalcMFFCiPN2rw3CutEPiS2_S2_S2_S2_S2_i
	.type	_Z8CalcMFFCiPN2rw3CutEPiS2_S2_S2_S2_S2_i,@function
_Z8CalcMFFCiPN2rw3CutEPiS2_S2_S2_S2_S2_i: ; @_Z8CalcMFFCiPN2rw3CutEPiS2_S2_S2_S2_S2_i
; %bb.0:
	s_waitcnt vmcnt(0) expcnt(0) lgkmcnt(0)
	s_mov_b32 s4, s33
	s_mov_b32 s33, s32
	s_or_saveexec_b32 s5, -1
	buffer_store_dword v75, off, s[0:3], s33 offset:76 ; 4-byte Folded Spill
	s_mov_b32 exec_lo, s5
	v_writelane_b32 v75, s4, 4
	s_addk_i32 s32, 0xc00
	buffer_store_dword v40, off, s[0:3], s33 offset:72 ; 4-byte Folded Spill
	buffer_store_dword v41, off, s[0:3], s33 offset:68 ; 4-byte Folded Spill
	;; [unrolled: 1-line block ×18, first 2 shown]
	buffer_store_dword v74, off, s[0:3], s33 ; 4-byte Folded Spill
	v_writelane_b32 v75, s34, 0
	v_writelane_b32 v75, s35, 1
	;; [unrolled: 1-line block ×4, first 2 shown]
	v_mov_b32_e32 v44, v1
	v_mov_b32_e32 v45, v2
	;; [unrolled: 1-line block ×5, first 2 shown]
	v_add_co_u32 v62, vcc_lo, v44, 4
	v_mov_b32_e32 v57, v11
	v_mov_b32_e32 v41, v10
	;; [unrolled: 1-line block ×9, first 2 shown]
	v_add_co_ci_u32_e64 v63, null, 0, v45, vcc_lo
	v_mov_b32_e32 v3, 0
	s_mov_b32 s34, 0
	s_branch .LBB2_2
.LBB2_1:                                ;   in Loop: Header=BB2_2 Depth=1
	s_or_b32 exec_lo, exec_lo, s5
	s_and_b32 s4, exec_lo, s4
	s_or_b32 s34, s4, s34
	s_andn2_b32 exec_lo, exec_lo, s34
	s_cbranch_execz .LBB2_46
.LBB2_2:                                ; =>This Loop Header: Depth=1
                                        ;     Child Loop BB2_5 Depth 2
                                        ;     Child Loop BB2_12 Depth 2
	;; [unrolled: 1-line block ×4, first 2 shown]
	s_waitcnt vmcnt(0) lgkmcnt(0)
	v_ashrrev_i32_e32 v1, 31, v0
	flat_load_dword v4, v[44:45] offset:20
	v_mov_b32_e32 v74, v3
	s_mov_b32 s4, -1
	s_mov_b32 s5, exec_lo
	v_lshlrev_b64 v[72:73], 2, v[0:1]
	v_add_co_u32 v0, vcc_lo, v61, v72
	v_add_co_ci_u32_e64 v1, null, v60, v73, vcc_lo
	flat_load_dword v2, v[0:1]
	s_waitcnt vmcnt(1) lgkmcnt(1)
	v_bfe_u32 v5, v4, 27, 4
	v_cmpx_ne_u32_e32 0, v5
	s_cbranch_execz .LBB2_8
; %bb.3:                                ;   in Loop: Header=BB2_2 Depth=1
	v_mov_b32_e32 v3, v62
	v_mov_b32_e32 v4, v63
	s_mov_b32 s6, 0
                                        ; implicit-def: $sgpr7
                                        ; implicit-def: $sgpr9
                                        ; implicit-def: $sgpr8
	s_inst_prefetch 0x1
	s_branch .LBB2_5
	.p2align	6
.LBB2_4:                                ;   in Loop: Header=BB2_5 Depth=2
	s_or_b32 exec_lo, exec_lo, s10
	s_xor_b32 s4, s8, -1
	s_and_b32 s10, exec_lo, s9
	s_or_b32 s6, s10, s6
	s_andn2_b32 s7, s7, exec_lo
	s_and_b32 s4, s4, exec_lo
	s_or_b32 s7, s7, s4
	s_andn2_b32 exec_lo, exec_lo, s6
	s_cbranch_execz .LBB2_7
.LBB2_5:                                ;   Parent Loop BB2_2 Depth=1
                                        ; =>  This Inner Loop Header: Depth=2
	flat_load_dword v6, v[3:4]
	s_or_b32 s8, s8, exec_lo
	s_or_b32 s9, s9, exec_lo
	s_mov_b32 s10, exec_lo
	s_waitcnt vmcnt(0) lgkmcnt(0)
	v_cmpx_ne_u32_e64 v2, v6
	s_cbranch_execz .LBB2_4
; %bb.6:                                ;   in Loop: Header=BB2_5 Depth=2
	v_add_nc_u32_e32 v5, -1, v5
	v_add_co_u32 v3, s4, v3, 4
	v_add_co_ci_u32_e64 v4, null, 0, v4, s4
	v_cmp_eq_u32_e32 vcc_lo, 0, v5
	s_andn2_b32 s4, s9, exec_lo
	s_andn2_b32 s8, s8, exec_lo
	s_and_b32 s9, vcc_lo, exec_lo
	s_or_b32 s9, s4, s9
	s_branch .LBB2_4
.LBB2_7:                                ;   in Loop: Header=BB2_2 Depth=1
	s_inst_prefetch 0x2
	s_or_b32 exec_lo, exec_lo, s6
	s_orn2_b32 s4, s7, exec_lo
.LBB2_8:                                ;   in Loop: Header=BB2_2 Depth=1
	s_or_b32 exec_lo, exec_lo, s5
	v_mov_b32_e32 v4, 1
	s_and_saveexec_b32 s5, s4
	s_cbranch_execz .LBB2_22
; %bb.9:                                ;   in Loop: Header=BB2_2 Depth=1
	flat_load_dword v7, v[42:43]
	v_mov_b32_e32 v4, 1
	s_mov_b32 s4, 0
	s_mov_b32 s10, exec_lo
	s_waitcnt vmcnt(0) lgkmcnt(0)
	v_cmpx_lt_i32_e32 0, v7
	s_cbranch_execz .LBB2_17
; %bb.10:                               ;   in Loop: Header=BB2_2 Depth=1
	v_mov_b32_e32 v3, v40
	v_mov_b32_e32 v4, v41
	s_mov_b64 s[6:7], 0
	s_mov_b32 s12, 0
                                        ; implicit-def: $sgpr11
                                        ; implicit-def: $sgpr14
                                        ; implicit-def: $sgpr13
	s_inst_prefetch 0x1
	s_branch .LBB2_12
	.p2align	6
.LBB2_11:                               ;   in Loop: Header=BB2_12 Depth=2
	s_or_b32 exec_lo, exec_lo, s15
	s_and_b32 s4, exec_lo, s14
	v_mov_b32_e32 v5, s6
	v_mov_b32_e32 v6, s7
	s_or_b32 s12, s4, s12
	s_andn2_b32 s4, s11, exec_lo
	s_and_b32 s6, s13, exec_lo
	s_or_b32 s11, s4, s6
	s_mov_b64 s[6:7], s[8:9]
	s_andn2_b32 exec_lo, exec_lo, s12
	s_cbranch_execz .LBB2_14
.LBB2_12:                               ;   Parent Loop BB2_2 Depth=1
                                        ; =>  This Inner Loop Header: Depth=2
	flat_load_dword v5, v[3:4]
	s_or_b32 s13, s13, exec_lo
	s_or_b32 s14, s14, exec_lo
	s_mov_b32 s15, exec_lo
                                        ; implicit-def: $sgpr8_sgpr9
	s_waitcnt vmcnt(0) lgkmcnt(0)
	v_cmpx_ne_u32_e64 v5, v2
	s_cbranch_execz .LBB2_11
; %bb.13:                               ;   in Loop: Header=BB2_12 Depth=2
	s_add_u32 s8, s6, 1
	v_add_co_u32 v3, s4, v3, 4
	v_cmp_eq_u32_e32 vcc_lo, s8, v7
	v_add_co_ci_u32_e64 v4, null, 0, v4, s4
	s_addc_u32 s9, s7, 0
	s_andn2_b32 s4, s14, exec_lo
	s_and_b32 s14, vcc_lo, exec_lo
	s_andn2_b32 s13, s13, exec_lo
	s_or_b32 s14, s4, s14
	s_branch .LBB2_11
.LBB2_14:                               ;   in Loop: Header=BB2_2 Depth=1
	s_inst_prefetch 0x2
	s_or_b32 exec_lo, exec_lo, s12
	v_mov_b32_e32 v4, 1
	s_mov_b32 s4, 0
	s_and_saveexec_b32 s6, s11
	s_xor_b32 s6, exec_lo, s6
	s_cbranch_execz .LBB2_16
; %bb.15:                               ;   in Loop: Header=BB2_2 Depth=1
	v_lshlrev_b64 v[3:4], 2, v[5:6]
	s_mov_b32 s4, exec_lo
	v_add_co_u32 v5, vcc_lo, v57, v3
	v_add_co_ci_u32_e64 v6, null, v56, v4, vcc_lo
	flat_load_dword v3, v[5:6]
	s_waitcnt vmcnt(0) lgkmcnt(0)
	v_add_nc_u32_e32 v4, -1, v3
	flat_store_dword v[5:6], v4
.LBB2_16:                               ;   in Loop: Header=BB2_2 Depth=1
	s_or_b32 exec_lo, exec_lo, s6
	s_and_b32 s4, s4, exec_lo
.LBB2_17:                               ;   in Loop: Header=BB2_2 Depth=1
	s_or_b32 exec_lo, exec_lo, s10
	s_xor_b32 s6, s4, -1
	s_and_saveexec_b32 s4, s6
	s_cbranch_execz .LBB2_21
; %bb.18:                               ;   in Loop: Header=BB2_2 Depth=1
	flat_load_dword v3, v[42:43]
	v_mov_b32_e32 v4, 1
	s_mov_b32 s6, exec_lo
	s_waitcnt vmcnt(0) lgkmcnt(0)
	v_cmpx_ne_u32_e32 8, v3
	s_cbranch_execz .LBB2_20
; %bb.19:                               ;   in Loop: Header=BB2_2 Depth=1
	v_ashrrev_i32_e32 v4, 31, v3
	v_lshlrev_b64 v[4:5], 2, v[3:4]
	v_ashrrev_i32_e32 v3, 31, v2
	v_lshlrev_b64 v[6:7], 2, v[2:3]
	v_add_co_u32 v4, vcc_lo, v40, v4
	v_add_co_ci_u32_e64 v5, null, v41, v5, vcc_lo
	flat_store_dword v[4:5], v2
	flat_load_dword v2, v[42:43]
	v_add_co_u32 v4, vcc_lo, v47, v6
	v_add_co_ci_u32_e64 v5, null, v46, v7, vcc_lo
	flat_load_dword v6, v[4:5]
	s_waitcnt vmcnt(1) lgkmcnt(1)
	v_ashrrev_i32_e32 v3, 31, v2
	v_lshlrev_b64 v[2:3], 2, v[2:3]
	s_waitcnt vmcnt(0) lgkmcnt(0)
	v_add_nc_u32_e32 v6, -1, v6
	v_add_co_u32 v2, vcc_lo, v57, v2
	v_add_co_ci_u32_e64 v3, null, v56, v3, vcc_lo
	flat_store_dword v[2:3], v6
	flat_load_dword v2, v[42:43]
	s_waitcnt vmcnt(0) lgkmcnt(0)
	v_add_nc_u32_e32 v2, 1, v2
	flat_store_dword v[42:43], v2
	flat_load_dword v2, v[4:5]
	s_waitcnt vmcnt(0) lgkmcnt(0)
	v_add_nc_u32_e32 v4, -1, v2
.LBB2_20:                               ;   in Loop: Header=BB2_2 Depth=1
	s_or_b32 exec_lo, exec_lo, s6
.LBB2_21:                               ;   in Loop: Header=BB2_2 Depth=1
	s_or_b32 exec_lo, exec_lo, s4
.LBB2_22:                               ;   in Loop: Header=BB2_2 Depth=1
	s_or_b32 exec_lo, exec_lo, s5
	v_mov_b32_e32 v8, 1
	s_mov_b32 s35, exec_lo
	v_cmpx_eq_u32_e32 0, v4
	s_cbranch_execz .LBB2_24
; %bb.23:                               ;   in Loop: Header=BB2_2 Depth=1
	flat_load_dword v0, v[0:1]
	v_mov_b32_e32 v1, v44
	s_waitcnt vmcnt(1) lgkmcnt(1)
	v_mov_b32_e32 v2, v45
	v_mov_b32_e32 v3, v61
	;; [unrolled: 1-line block ×13, first 2 shown]
	s_getpc_b64 s[4:5]
	s_add_u32 s4, s4, _Z8CalcMFFCiPN2rw3CutEPiS2_S2_S2_S2_S2_i@rel32@lo+4
	s_addc_u32 s5, s5, _Z8CalcMFFCiPN2rw3CutEPiS2_S2_S2_S2_S2_i@rel32@hi+12
	s_swappc_b64 s[30:31], s[4:5]
	v_add_nc_u32_e32 v8, 1, v0
.LBB2_24:                               ;   in Loop: Header=BB2_2 Depth=1
	s_or_b32 exec_lo, exec_lo, s35
	v_add_co_u32 v1, vcc_lo, v59, v72
	flat_load_dword v0, v[44:45] offset:20
	s_waitcnt vmcnt(1) lgkmcnt(1)
	v_add_co_ci_u32_e64 v2, null, v58, v73, vcc_lo
	s_mov_b32 s4, -1
	s_mov_b32 s5, exec_lo
	flat_load_dword v3, v[1:2]
	s_waitcnt vmcnt(1) lgkmcnt(1)
	v_bfe_u32 v0, v0, 27, 4
	v_cmpx_ne_u32_e32 0, v0
	s_cbranch_execz .LBB2_30
; %bb.25:                               ;   in Loop: Header=BB2_2 Depth=1
	v_mov_b32_e32 v4, v62
	v_mov_b32_e32 v5, v63
	s_mov_b32 s6, 0
                                        ; implicit-def: $sgpr7
                                        ; implicit-def: $sgpr9
                                        ; implicit-def: $sgpr8
	s_inst_prefetch 0x1
	s_branch .LBB2_27
	.p2align	6
.LBB2_26:                               ;   in Loop: Header=BB2_27 Depth=2
	s_or_b32 exec_lo, exec_lo, s10
	s_xor_b32 s4, s8, -1
	s_and_b32 s10, exec_lo, s9
	s_or_b32 s6, s10, s6
	s_andn2_b32 s7, s7, exec_lo
	s_and_b32 s4, s4, exec_lo
	s_or_b32 s7, s7, s4
	s_andn2_b32 exec_lo, exec_lo, s6
	s_cbranch_execz .LBB2_29
.LBB2_27:                               ;   Parent Loop BB2_2 Depth=1
                                        ; =>  This Inner Loop Header: Depth=2
	flat_load_dword v6, v[4:5]
	s_or_b32 s8, s8, exec_lo
	s_or_b32 s9, s9, exec_lo
	s_mov_b32 s10, exec_lo
	s_waitcnt vmcnt(0) lgkmcnt(0)
	v_cmpx_ne_u32_e64 v3, v6
	s_cbranch_execz .LBB2_26
; %bb.28:                               ;   in Loop: Header=BB2_27 Depth=2
	v_add_nc_u32_e32 v0, -1, v0
	v_add_co_u32 v4, s4, v4, 4
	v_add_co_ci_u32_e64 v5, null, 0, v5, s4
	v_cmp_eq_u32_e32 vcc_lo, 0, v0
	s_andn2_b32 s4, s9, exec_lo
	s_andn2_b32 s8, s8, exec_lo
	s_and_b32 s9, vcc_lo, exec_lo
	s_or_b32 s9, s4, s9
	s_branch .LBB2_26
.LBB2_29:                               ;   in Loop: Header=BB2_2 Depth=1
	s_inst_prefetch 0x2
	s_or_b32 exec_lo, exec_lo, s6
	s_orn2_b32 s4, s7, exec_lo
.LBB2_30:                               ;   in Loop: Header=BB2_2 Depth=1
	s_or_b32 exec_lo, exec_lo, s5
	v_mov_b32_e32 v5, 1
	s_and_saveexec_b32 s5, s4
	s_cbranch_execz .LBB2_44
; %bb.31:                               ;   in Loop: Header=BB2_2 Depth=1
	flat_load_dword v0, v[42:43]
	v_mov_b32_e32 v5, 1
	s_mov_b32 s4, 0
	s_mov_b32 s10, exec_lo
	s_waitcnt vmcnt(0) lgkmcnt(0)
	v_cmpx_lt_i32_e32 0, v0
	s_cbranch_execz .LBB2_39
; %bb.32:                               ;   in Loop: Header=BB2_2 Depth=1
	v_mov_b32_e32 v4, v40
	v_mov_b32_e32 v5, v41
	s_mov_b64 s[6:7], 0
	s_mov_b32 s12, 0
                                        ; implicit-def: $sgpr11
                                        ; implicit-def: $sgpr14
                                        ; implicit-def: $sgpr13
	s_inst_prefetch 0x1
	s_branch .LBB2_34
	.p2align	6
.LBB2_33:                               ;   in Loop: Header=BB2_34 Depth=2
	s_or_b32 exec_lo, exec_lo, s15
	s_and_b32 s4, exec_lo, s14
	v_mov_b32_e32 v6, s6
	v_mov_b32_e32 v7, s7
	s_or_b32 s12, s4, s12
	s_andn2_b32 s4, s11, exec_lo
	s_and_b32 s6, s13, exec_lo
	s_or_b32 s11, s4, s6
	s_mov_b64 s[6:7], s[8:9]
	s_andn2_b32 exec_lo, exec_lo, s12
	s_cbranch_execz .LBB2_36
.LBB2_34:                               ;   Parent Loop BB2_2 Depth=1
                                        ; =>  This Inner Loop Header: Depth=2
	flat_load_dword v6, v[4:5]
	s_or_b32 s13, s13, exec_lo
	s_or_b32 s14, s14, exec_lo
	s_mov_b32 s15, exec_lo
                                        ; implicit-def: $sgpr8_sgpr9
	s_waitcnt vmcnt(0) lgkmcnt(0)
	v_cmpx_ne_u32_e64 v6, v3
	s_cbranch_execz .LBB2_33
; %bb.35:                               ;   in Loop: Header=BB2_34 Depth=2
	s_add_u32 s8, s6, 1
	v_add_co_u32 v4, s4, v4, 4
	v_cmp_eq_u32_e32 vcc_lo, s8, v0
	v_add_co_ci_u32_e64 v5, null, 0, v5, s4
	s_addc_u32 s9, s7, 0
	s_andn2_b32 s4, s14, exec_lo
	s_and_b32 s14, vcc_lo, exec_lo
	s_andn2_b32 s13, s13, exec_lo
	s_or_b32 s14, s4, s14
	s_branch .LBB2_33
.LBB2_36:                               ;   in Loop: Header=BB2_2 Depth=1
	s_inst_prefetch 0x2
	s_or_b32 exec_lo, exec_lo, s12
	v_mov_b32_e32 v5, 1
	s_mov_b32 s4, 0
	s_and_saveexec_b32 s6, s11
	s_xor_b32 s6, exec_lo, s6
	s_cbranch_execz .LBB2_38
; %bb.37:                               ;   in Loop: Header=BB2_2 Depth=1
	v_lshlrev_b64 v[4:5], 2, v[6:7]
	s_mov_b32 s4, exec_lo
	v_add_co_u32 v6, vcc_lo, v57, v4
	v_add_co_ci_u32_e64 v7, null, v56, v5, vcc_lo
	flat_load_dword v0, v[6:7]
	s_waitcnt vmcnt(0) lgkmcnt(0)
	v_add_nc_u32_e32 v5, -1, v0
	flat_store_dword v[6:7], v5
.LBB2_38:                               ;   in Loop: Header=BB2_2 Depth=1
	s_or_b32 exec_lo, exec_lo, s6
	s_and_b32 s4, s4, exec_lo
.LBB2_39:                               ;   in Loop: Header=BB2_2 Depth=1
	s_or_b32 exec_lo, exec_lo, s10
	s_xor_b32 s6, s4, -1
	s_and_saveexec_b32 s4, s6
	s_cbranch_execz .LBB2_43
; %bb.40:                               ;   in Loop: Header=BB2_2 Depth=1
	flat_load_dword v4, v[42:43]
	v_mov_b32_e32 v5, 1
	s_mov_b32 s6, exec_lo
	s_waitcnt vmcnt(0) lgkmcnt(0)
	v_cmpx_ne_u32_e32 8, v4
	s_cbranch_execz .LBB2_42
; %bb.41:                               ;   in Loop: Header=BB2_2 Depth=1
	v_ashrrev_i32_e32 v5, 31, v4
	v_lshlrev_b64 v[5:6], 2, v[4:5]
	v_ashrrev_i32_e32 v4, 31, v3
	v_lshlrev_b64 v[9:10], 2, v[3:4]
	v_add_co_u32 v5, vcc_lo, v40, v5
	v_add_co_ci_u32_e64 v6, null, v41, v6, vcc_lo
	flat_store_dword v[5:6], v3
	flat_load_dword v3, v[42:43]
	v_add_co_u32 v5, vcc_lo, v47, v9
	v_add_co_ci_u32_e64 v6, null, v46, v10, vcc_lo
	flat_load_dword v0, v[5:6]
	s_waitcnt vmcnt(1) lgkmcnt(1)
	v_ashrrev_i32_e32 v4, 31, v3
	v_lshlrev_b64 v[3:4], 2, v[3:4]
	s_waitcnt vmcnt(0) lgkmcnt(0)
	v_add_nc_u32_e32 v0, -1, v0
	v_add_co_u32 v3, vcc_lo, v57, v3
	v_add_co_ci_u32_e64 v4, null, v56, v4, vcc_lo
	flat_store_dword v[3:4], v0
	flat_load_dword v0, v[42:43]
	s_waitcnt vmcnt(0) lgkmcnt(0)
	v_add_nc_u32_e32 v0, 1, v0
	flat_store_dword v[42:43], v0
	flat_load_dword v0, v[5:6]
	s_waitcnt vmcnt(0) lgkmcnt(0)
	v_add_nc_u32_e32 v5, -1, v0
.LBB2_42:                               ;   in Loop: Header=BB2_2 Depth=1
	s_or_b32 exec_lo, exec_lo, s6
.LBB2_43:                               ;   in Loop: Header=BB2_2 Depth=1
	s_or_b32 exec_lo, exec_lo, s4
.LBB2_44:                               ;   in Loop: Header=BB2_2 Depth=1
	s_or_b32 exec_lo, exec_lo, s5
	s_mov_b32 s4, -1
	s_mov_b32 s5, exec_lo
                                        ; implicit-def: $vgpr0
                                        ; implicit-def: $vgpr3
	v_cmpx_eq_u32_e32 0, v5
	s_cbranch_execz .LBB2_1
; %bb.45:                               ;   in Loop: Header=BB2_2 Depth=1
	flat_load_dword v0, v[1:2]
	s_waitcnt vmcnt(1) lgkmcnt(1)
	v_add_nc_u32_e32 v3, v8, v74
	s_xor_b32 s4, exec_lo, -1
	s_branch .LBB2_1
.LBB2_46:
	s_or_b32 exec_lo, exec_lo, s34
	s_waitcnt vmcnt(0) lgkmcnt(0)
	v_add_nc_u32_e32 v0, v8, v74
	s_clause 0x12
	buffer_load_dword v74, off, s[0:3], s33
	buffer_load_dword v73, off, s[0:3], s33 offset:4
	buffer_load_dword v72, off, s[0:3], s33 offset:8
	;; [unrolled: 1-line block ×18, first 2 shown]
	v_readlane_b32 s30, v75, 2
	v_readlane_b32 s31, v75, 3
	;; [unrolled: 1-line block ×4, first 2 shown]
	s_mov_b32 s32, s33
	v_readlane_b32 s4, v75, 4
	s_or_saveexec_b32 s5, -1
	buffer_load_dword v75, off, s[0:3], s33 offset:76 ; 4-byte Folded Reload
	s_mov_b32 exec_lo, s5
	s_mov_b32 s33, s4
	s_waitcnt vmcnt(0)
	s_setpc_b64 s[30:31]
.Lfunc_end2:
	.size	_Z8CalcMFFCiPN2rw3CutEPiS2_S2_S2_S2_S2_i, .Lfunc_end2-_Z8CalcMFFCiPN2rw3CutEPiS2_S2_S2_S2_S2_i
                                        ; -- End function
	.set .L_Z8CalcMFFCiPN2rw3CutEPiS2_S2_S2_S2_S2_i.num_vgpr, 76
	.set .L_Z8CalcMFFCiPN2rw3CutEPiS2_S2_S2_S2_S2_i.num_agpr, 0
	.set .L_Z8CalcMFFCiPN2rw3CutEPiS2_S2_S2_S2_S2_i.numbered_sgpr, 36
	.set .L_Z8CalcMFFCiPN2rw3CutEPiS2_S2_S2_S2_S2_i.num_named_barrier, 0
	.set .L_Z8CalcMFFCiPN2rw3CutEPiS2_S2_S2_S2_S2_i.private_seg_size, 96
	.set .L_Z8CalcMFFCiPN2rw3CutEPiS2_S2_S2_S2_S2_i.uses_vcc, 1
	.set .L_Z8CalcMFFCiPN2rw3CutEPiS2_S2_S2_S2_S2_i.uses_flat_scratch, 0
	.set .L_Z8CalcMFFCiPN2rw3CutEPiS2_S2_S2_S2_S2_i.has_dyn_sized_stack, 0
	.set .L_Z8CalcMFFCiPN2rw3CutEPiS2_S2_S2_S2_S2_i.has_recursion, 1
	.set .L_Z8CalcMFFCiPN2rw3CutEPiS2_S2_S2_S2_S2_i.has_indirect_call, 0
	.section	.AMDGPU.csdata,"",@progbits
; Function info:
; codeLenInByte = 2320
; TotalNumSgprs: 38
; NumVgprs: 76
; ScratchSize: 96
; MemoryBound: 0
	.text
	.p2align	2                               ; -- Begin function __ockl_fprintf_append_string_n
	.type	__ockl_fprintf_append_string_n,@function
__ockl_fprintf_append_string_n:         ; @__ockl_fprintf_append_string_n
; %bb.0:
	s_waitcnt vmcnt(0) expcnt(0) lgkmcnt(0)
	v_mov_b32_e32 v7, v2
	v_or_b32_e32 v2, 2, v0
	v_cmp_eq_u32_e32 vcc_lo, 0, v6
	v_mov_b32_e32 v8, v3
	v_mbcnt_lo_u32_b32 v33, -1, 0
	s_mov_b32 s15, 0
	s_mov_b32 s4, exec_lo
	v_cndmask_b32_e32 v0, v2, v0, vcc_lo
	v_cmpx_ne_u64_e32 0, v[7:8]
	s_xor_b32 s14, exec_lo, s4
	s_cbranch_execz .LBB3_86
; %bb.1:
	s_load_dwordx2 s[6:7], s[8:9], 0x50
	v_and_b32_e32 v6, 2, v0
	v_mov_b32_e32 v10, 0
	v_and_b32_e32 v0, -3, v0
	v_mov_b32_e32 v11, 2
	v_mov_b32_e32 v12, 1
	s_mov_b32 s16, 0
	s_branch .LBB3_3
.LBB3_2:                                ;   in Loop: Header=BB3_3 Depth=1
	s_or_b32 exec_lo, exec_lo, s12
	v_sub_co_u32 v4, vcc_lo, v4, v29
	v_sub_co_ci_u32_e64 v5, null, v5, v30, vcc_lo
	v_add_co_u32 v7, s4, v7, v29
	v_add_co_ci_u32_e64 v8, null, v8, v30, s4
	v_cmp_eq_u64_e32 vcc_lo, 0, v[4:5]
	s_or_b32 s16, vcc_lo, s16
	s_andn2_b32 exec_lo, exec_lo, s16
	s_cbranch_execz .LBB3_85
.LBB3_3:                                ; =>This Loop Header: Depth=1
                                        ;     Child Loop BB3_6 Depth 2
                                        ;     Child Loop BB3_14 Depth 2
	;; [unrolled: 1-line block ×11, first 2 shown]
	v_cmp_gt_u64_e32 vcc_lo, 56, v[4:5]
	s_mov_b32 s5, exec_lo
	v_cndmask_b32_e32 v30, 0, v5, vcc_lo
	v_cndmask_b32_e32 v29, 56, v4, vcc_lo
	v_add_co_u32 v15, vcc_lo, v7, 8
	v_add_co_ci_u32_e64 v16, null, 0, v8, vcc_lo
	v_cmpx_gt_u64_e32 8, v[4:5]
	s_xor_b32 s5, exec_lo, s5
	s_cbranch_execz .LBB3_9
; %bb.4:                                ;   in Loop: Header=BB3_3 Depth=1
	s_waitcnt vmcnt(0)
	v_mov_b32_e32 v2, 0
	v_mov_b32_e32 v3, 0
	s_mov_b32 s12, exec_lo
	v_cmpx_ne_u64_e32 0, v[4:5]
	s_cbranch_execz .LBB3_8
; %bb.5:                                ;   in Loop: Header=BB3_3 Depth=1
	v_lshlrev_b64 v[13:14], 3, v[29:30]
	v_mov_b32_e32 v2, 0
	v_mov_b32_e32 v15, v8
	;; [unrolled: 1-line block ×4, first 2 shown]
	s_mov_b64 s[10:11], 0
	s_mov_b32 s13, 0
	.p2align	6
.LBB3_6:                                ;   Parent Loop BB3_3 Depth=1
                                        ; =>  This Inner Loop Header: Depth=2
	global_load_ubyte v9, v[14:15], off
	v_mov_b32_e32 v17, s15
	v_add_co_u32 v14, vcc_lo, v14, 1
	v_add_co_ci_u32_e64 v15, null, 0, v15, vcc_lo
	s_waitcnt vmcnt(0)
	v_and_b32_e32 v16, 0xffff, v9
	v_lshlrev_b64 v[16:17], s10, v[16:17]
	s_add_u32 s10, s10, 8
	s_addc_u32 s11, s11, 0
	v_cmp_eq_u32_e64 s4, s10, v13
	v_or_b32_e32 v3, v17, v3
	v_or_b32_e32 v2, v16, v2
	s_or_b32 s13, s4, s13
	s_andn2_b32 exec_lo, exec_lo, s13
	s_cbranch_execnz .LBB3_6
; %bb.7:                                ;   in Loop: Header=BB3_3 Depth=1
	s_or_b32 exec_lo, exec_lo, s13
.LBB3_8:                                ;   in Loop: Header=BB3_3 Depth=1
	s_or_b32 exec_lo, exec_lo, s12
	v_mov_b32_e32 v16, v8
	v_mov_b32_e32 v15, v7
.LBB3_9:                                ;   in Loop: Header=BB3_3 Depth=1
	s_or_saveexec_b32 s4, s5
	v_mov_b32_e32 v9, 0
	s_xor_b32 exec_lo, exec_lo, s4
	s_cbranch_execz .LBB3_11
; %bb.10:                               ;   in Loop: Header=BB3_3 Depth=1
	global_load_dwordx2 v[2:3], v[7:8], off
	v_add_nc_u32_e32 v9, -8, v29
.LBB3_11:                               ;   in Loop: Header=BB3_3 Depth=1
	s_or_b32 exec_lo, exec_lo, s4
	v_add_co_u32 v17, s4, v15, 8
	v_add_co_ci_u32_e64 v18, null, 0, v16, s4
                                        ; implicit-def: $vgpr13_vgpr14
	s_mov_b32 s4, exec_lo
	v_cmpx_gt_u32_e32 8, v9
	s_xor_b32 s12, exec_lo, s4
	s_cbranch_execz .LBB3_17
; %bb.12:                               ;   in Loop: Header=BB3_3 Depth=1
	v_mov_b32_e32 v13, 0
	v_mov_b32_e32 v14, 0
	s_mov_b32 s13, exec_lo
	v_cmpx_ne_u32_e32 0, v9
	s_cbranch_execz .LBB3_16
; %bb.13:                               ;   in Loop: Header=BB3_3 Depth=1
	v_mov_b32_e32 v13, 0
	v_mov_b32_e32 v14, 0
	s_mov_b64 s[4:5], 0
	s_mov_b32 s17, 0
	s_mov_b64 s[10:11], 0
	.p2align	6
.LBB3_14:                               ;   Parent Loop BB3_3 Depth=1
                                        ; =>  This Inner Loop Header: Depth=2
	v_add_co_u32 v17, vcc_lo, v15, s10
	v_add_co_ci_u32_e64 v18, null, s11, v16, vcc_lo
	s_add_u32 s10, s10, 1
	s_addc_u32 s11, s11, 0
	v_cmp_eq_u32_e32 vcc_lo, s10, v9
	global_load_ubyte v17, v[17:18], off
	v_mov_b32_e32 v18, s15
	s_waitcnt vmcnt(0)
	v_and_b32_e32 v17, 0xffff, v17
	v_lshlrev_b64 v[17:18], s4, v[17:18]
	s_add_u32 s4, s4, 8
	s_addc_u32 s5, s5, 0
	s_or_b32 s17, vcc_lo, s17
	v_or_b32_e32 v14, v18, v14
	v_or_b32_e32 v13, v17, v13
	s_andn2_b32 exec_lo, exec_lo, s17
	s_cbranch_execnz .LBB3_14
; %bb.15:                               ;   in Loop: Header=BB3_3 Depth=1
	s_or_b32 exec_lo, exec_lo, s17
.LBB3_16:                               ;   in Loop: Header=BB3_3 Depth=1
	s_or_b32 exec_lo, exec_lo, s13
	v_mov_b32_e32 v18, v16
	v_mov_b32_e32 v17, v15
                                        ; implicit-def: $vgpr9
.LBB3_17:                               ;   in Loop: Header=BB3_3 Depth=1
	s_or_saveexec_b32 s4, s12
	v_mov_b32_e32 v21, 0
	s_xor_b32 exec_lo, exec_lo, s4
	s_cbranch_execz .LBB3_19
; %bb.18:                               ;   in Loop: Header=BB3_3 Depth=1
	global_load_dwordx2 v[13:14], v[15:16], off
	v_add_nc_u32_e32 v21, -8, v9
.LBB3_19:                               ;   in Loop: Header=BB3_3 Depth=1
	s_or_b32 exec_lo, exec_lo, s4
	v_add_co_u32 v19, s4, v17, 8
	v_add_co_ci_u32_e64 v20, null, 0, v18, s4
	s_mov_b32 s4, exec_lo
	v_cmpx_gt_u32_e32 8, v21
	s_xor_b32 s12, exec_lo, s4
	s_cbranch_execz .LBB3_25
; %bb.20:                               ;   in Loop: Header=BB3_3 Depth=1
	v_mov_b32_e32 v15, 0
	v_mov_b32_e32 v16, 0
	s_mov_b32 s13, exec_lo
	v_cmpx_ne_u32_e32 0, v21
	s_cbranch_execz .LBB3_24
; %bb.21:                               ;   in Loop: Header=BB3_3 Depth=1
	v_mov_b32_e32 v15, 0
	v_mov_b32_e32 v16, 0
	s_mov_b64 s[4:5], 0
	s_mov_b32 s17, 0
	s_mov_b64 s[10:11], 0
	.p2align	6
.LBB3_22:                               ;   Parent Loop BB3_3 Depth=1
                                        ; =>  This Inner Loop Header: Depth=2
	v_add_co_u32 v19, vcc_lo, v17, s10
	v_add_co_ci_u32_e64 v20, null, s11, v18, vcc_lo
	s_add_u32 s10, s10, 1
	s_addc_u32 s11, s11, 0
	v_cmp_eq_u32_e32 vcc_lo, s10, v21
	global_load_ubyte v9, v[19:20], off
	v_mov_b32_e32 v20, s15
	s_waitcnt vmcnt(0)
	v_and_b32_e32 v19, 0xffff, v9
	v_lshlrev_b64 v[19:20], s4, v[19:20]
	s_add_u32 s4, s4, 8
	s_addc_u32 s5, s5, 0
	s_or_b32 s17, vcc_lo, s17
	v_or_b32_e32 v16, v20, v16
	v_or_b32_e32 v15, v19, v15
	s_andn2_b32 exec_lo, exec_lo, s17
	s_cbranch_execnz .LBB3_22
; %bb.23:                               ;   in Loop: Header=BB3_3 Depth=1
	s_or_b32 exec_lo, exec_lo, s17
.LBB3_24:                               ;   in Loop: Header=BB3_3 Depth=1
	s_or_b32 exec_lo, exec_lo, s13
	v_mov_b32_e32 v20, v18
	v_mov_b32_e32 v19, v17
                                        ; implicit-def: $vgpr21
.LBB3_25:                               ;   in Loop: Header=BB3_3 Depth=1
	s_or_saveexec_b32 s4, s12
	v_mov_b32_e32 v9, 0
	s_xor_b32 exec_lo, exec_lo, s4
	s_cbranch_execz .LBB3_27
; %bb.26:                               ;   in Loop: Header=BB3_3 Depth=1
	global_load_dwordx2 v[15:16], v[17:18], off
	v_add_nc_u32_e32 v9, -8, v21
.LBB3_27:                               ;   in Loop: Header=BB3_3 Depth=1
	s_or_b32 exec_lo, exec_lo, s4
	v_add_co_u32 v21, s4, v19, 8
	v_add_co_ci_u32_e64 v22, null, 0, v20, s4
                                        ; implicit-def: $vgpr17_vgpr18
	s_mov_b32 s4, exec_lo
	v_cmpx_gt_u32_e32 8, v9
	s_xor_b32 s12, exec_lo, s4
	s_cbranch_execz .LBB3_33
; %bb.28:                               ;   in Loop: Header=BB3_3 Depth=1
	v_mov_b32_e32 v17, 0
	v_mov_b32_e32 v18, 0
	s_mov_b32 s13, exec_lo
	v_cmpx_ne_u32_e32 0, v9
	s_cbranch_execz .LBB3_32
; %bb.29:                               ;   in Loop: Header=BB3_3 Depth=1
	v_mov_b32_e32 v17, 0
	v_mov_b32_e32 v18, 0
	s_mov_b64 s[4:5], 0
	s_mov_b32 s17, 0
	s_mov_b64 s[10:11], 0
	.p2align	6
.LBB3_30:                               ;   Parent Loop BB3_3 Depth=1
                                        ; =>  This Inner Loop Header: Depth=2
	v_add_co_u32 v21, vcc_lo, v19, s10
	v_add_co_ci_u32_e64 v22, null, s11, v20, vcc_lo
	s_add_u32 s10, s10, 1
	s_addc_u32 s11, s11, 0
	v_cmp_eq_u32_e32 vcc_lo, s10, v9
	global_load_ubyte v21, v[21:22], off
	v_mov_b32_e32 v22, s15
	s_waitcnt vmcnt(0)
	v_and_b32_e32 v21, 0xffff, v21
	v_lshlrev_b64 v[21:22], s4, v[21:22]
	s_add_u32 s4, s4, 8
	s_addc_u32 s5, s5, 0
	s_or_b32 s17, vcc_lo, s17
	v_or_b32_e32 v18, v22, v18
	v_or_b32_e32 v17, v21, v17
	s_andn2_b32 exec_lo, exec_lo, s17
	s_cbranch_execnz .LBB3_30
; %bb.31:                               ;   in Loop: Header=BB3_3 Depth=1
	s_or_b32 exec_lo, exec_lo, s17
.LBB3_32:                               ;   in Loop: Header=BB3_3 Depth=1
	s_or_b32 exec_lo, exec_lo, s13
	v_mov_b32_e32 v22, v20
	v_mov_b32_e32 v21, v19
                                        ; implicit-def: $vgpr9
.LBB3_33:                               ;   in Loop: Header=BB3_3 Depth=1
	s_or_saveexec_b32 s4, s12
	v_mov_b32_e32 v25, 0
	s_xor_b32 exec_lo, exec_lo, s4
	s_cbranch_execz .LBB3_35
; %bb.34:                               ;   in Loop: Header=BB3_3 Depth=1
	global_load_dwordx2 v[17:18], v[19:20], off
	v_add_nc_u32_e32 v25, -8, v9
.LBB3_35:                               ;   in Loop: Header=BB3_3 Depth=1
	s_or_b32 exec_lo, exec_lo, s4
	v_add_co_u32 v23, s4, v21, 8
	v_add_co_ci_u32_e64 v24, null, 0, v22, s4
	s_mov_b32 s4, exec_lo
	v_cmpx_gt_u32_e32 8, v25
	s_xor_b32 s12, exec_lo, s4
	s_cbranch_execz .LBB3_41
; %bb.36:                               ;   in Loop: Header=BB3_3 Depth=1
	v_mov_b32_e32 v19, 0
	v_mov_b32_e32 v20, 0
	s_mov_b32 s13, exec_lo
	v_cmpx_ne_u32_e32 0, v25
	s_cbranch_execz .LBB3_40
; %bb.37:                               ;   in Loop: Header=BB3_3 Depth=1
	v_mov_b32_e32 v19, 0
	v_mov_b32_e32 v20, 0
	s_mov_b64 s[4:5], 0
	s_mov_b32 s17, 0
	s_mov_b64 s[10:11], 0
	.p2align	6
.LBB3_38:                               ;   Parent Loop BB3_3 Depth=1
                                        ; =>  This Inner Loop Header: Depth=2
	v_add_co_u32 v23, vcc_lo, v21, s10
	v_add_co_ci_u32_e64 v24, null, s11, v22, vcc_lo
	s_add_u32 s10, s10, 1
	s_addc_u32 s11, s11, 0
	v_cmp_eq_u32_e32 vcc_lo, s10, v25
	global_load_ubyte v9, v[23:24], off
	v_mov_b32_e32 v24, s15
	s_waitcnt vmcnt(0)
	v_and_b32_e32 v23, 0xffff, v9
	v_lshlrev_b64 v[23:24], s4, v[23:24]
	s_add_u32 s4, s4, 8
	s_addc_u32 s5, s5, 0
	s_or_b32 s17, vcc_lo, s17
	v_or_b32_e32 v20, v24, v20
	v_or_b32_e32 v19, v23, v19
	s_andn2_b32 exec_lo, exec_lo, s17
	s_cbranch_execnz .LBB3_38
; %bb.39:                               ;   in Loop: Header=BB3_3 Depth=1
	s_or_b32 exec_lo, exec_lo, s17
.LBB3_40:                               ;   in Loop: Header=BB3_3 Depth=1
	s_or_b32 exec_lo, exec_lo, s13
	v_mov_b32_e32 v24, v22
	v_mov_b32_e32 v23, v21
                                        ; implicit-def: $vgpr25
.LBB3_41:                               ;   in Loop: Header=BB3_3 Depth=1
	s_or_saveexec_b32 s4, s12
	v_mov_b32_e32 v9, 0
	s_xor_b32 exec_lo, exec_lo, s4
	s_cbranch_execz .LBB3_43
; %bb.42:                               ;   in Loop: Header=BB3_3 Depth=1
	global_load_dwordx2 v[19:20], v[21:22], off
	v_add_nc_u32_e32 v9, -8, v25
.LBB3_43:                               ;   in Loop: Header=BB3_3 Depth=1
	s_or_b32 exec_lo, exec_lo, s4
	v_add_co_u32 v25, s4, v23, 8
	v_add_co_ci_u32_e64 v26, null, 0, v24, s4
                                        ; implicit-def: $vgpr21_vgpr22
	s_mov_b32 s4, exec_lo
	v_cmpx_gt_u32_e32 8, v9
	s_xor_b32 s12, exec_lo, s4
	s_cbranch_execz .LBB3_49
; %bb.44:                               ;   in Loop: Header=BB3_3 Depth=1
	v_mov_b32_e32 v21, 0
	v_mov_b32_e32 v22, 0
	s_mov_b32 s13, exec_lo
	v_cmpx_ne_u32_e32 0, v9
	s_cbranch_execz .LBB3_48
; %bb.45:                               ;   in Loop: Header=BB3_3 Depth=1
	v_mov_b32_e32 v21, 0
	v_mov_b32_e32 v22, 0
	s_mov_b64 s[4:5], 0
	s_mov_b32 s17, 0
	s_mov_b64 s[10:11], 0
	.p2align	6
.LBB3_46:                               ;   Parent Loop BB3_3 Depth=1
                                        ; =>  This Inner Loop Header: Depth=2
	v_add_co_u32 v25, vcc_lo, v23, s10
	v_add_co_ci_u32_e64 v26, null, s11, v24, vcc_lo
	s_add_u32 s10, s10, 1
	s_addc_u32 s11, s11, 0
	v_cmp_eq_u32_e32 vcc_lo, s10, v9
	global_load_ubyte v25, v[25:26], off
	v_mov_b32_e32 v26, s15
	s_waitcnt vmcnt(0)
	v_and_b32_e32 v25, 0xffff, v25
	v_lshlrev_b64 v[25:26], s4, v[25:26]
	s_add_u32 s4, s4, 8
	s_addc_u32 s5, s5, 0
	s_or_b32 s17, vcc_lo, s17
	v_or_b32_e32 v22, v26, v22
	v_or_b32_e32 v21, v25, v21
	s_andn2_b32 exec_lo, exec_lo, s17
	s_cbranch_execnz .LBB3_46
; %bb.47:                               ;   in Loop: Header=BB3_3 Depth=1
	s_or_b32 exec_lo, exec_lo, s17
.LBB3_48:                               ;   in Loop: Header=BB3_3 Depth=1
	s_or_b32 exec_lo, exec_lo, s13
	v_mov_b32_e32 v26, v24
	v_mov_b32_e32 v25, v23
                                        ; implicit-def: $vgpr9
.LBB3_49:                               ;   in Loop: Header=BB3_3 Depth=1
	s_or_saveexec_b32 s4, s12
	v_mov_b32_e32 v27, 0
	s_xor_b32 exec_lo, exec_lo, s4
	s_cbranch_execz .LBB3_51
; %bb.50:                               ;   in Loop: Header=BB3_3 Depth=1
	global_load_dwordx2 v[21:22], v[23:24], off
	v_add_nc_u32_e32 v27, -8, v9
.LBB3_51:                               ;   in Loop: Header=BB3_3 Depth=1
	s_or_b32 exec_lo, exec_lo, s4
	s_mov_b32 s4, exec_lo
	v_cmpx_gt_u32_e32 8, v27
	s_xor_b32 s10, exec_lo, s4
	s_cbranch_execz .LBB3_57
; %bb.52:                               ;   in Loop: Header=BB3_3 Depth=1
	v_mov_b32_e32 v23, 0
	v_mov_b32_e32 v24, 0
	s_mov_b32 s11, exec_lo
	v_cmpx_ne_u32_e32 0, v27
	s_cbranch_execz .LBB3_56
; %bb.53:                               ;   in Loop: Header=BB3_3 Depth=1
	v_mov_b32_e32 v23, 0
	v_mov_b32_e32 v24, 0
	s_mov_b64 s[4:5], 0
	s_mov_b32 s12, 0
	.p2align	6
.LBB3_54:                               ;   Parent Loop BB3_3 Depth=1
                                        ; =>  This Inner Loop Header: Depth=2
	global_load_ubyte v9, v[25:26], off
	v_mov_b32_e32 v32, s15
	v_add_nc_u32_e32 v27, -1, v27
	v_add_co_u32 v25, vcc_lo, v25, 1
	v_add_co_ci_u32_e64 v26, null, 0, v26, vcc_lo
	v_cmp_eq_u32_e32 vcc_lo, 0, v27
	s_waitcnt vmcnt(0)
	v_and_b32_e32 v31, 0xffff, v9
	v_lshlrev_b64 v[31:32], s4, v[31:32]
	s_add_u32 s4, s4, 8
	s_addc_u32 s5, s5, 0
	s_or_b32 s12, vcc_lo, s12
	v_or_b32_e32 v24, v32, v24
	v_or_b32_e32 v23, v31, v23
	s_andn2_b32 exec_lo, exec_lo, s12
	s_cbranch_execnz .LBB3_54
; %bb.55:                               ;   in Loop: Header=BB3_3 Depth=1
	s_or_b32 exec_lo, exec_lo, s12
.LBB3_56:                               ;   in Loop: Header=BB3_3 Depth=1
	s_or_b32 exec_lo, exec_lo, s11
                                        ; implicit-def: $vgpr25_vgpr26
.LBB3_57:                               ;   in Loop: Header=BB3_3 Depth=1
	s_andn2_saveexec_b32 s4, s10
	s_cbranch_execz .LBB3_59
; %bb.58:                               ;   in Loop: Header=BB3_3 Depth=1
	global_load_dwordx2 v[23:24], v[25:26], off
.LBB3_59:                               ;   in Loop: Header=BB3_3 Depth=1
	s_or_b32 exec_lo, exec_lo, s4
	v_readfirstlane_b32 s4, v33
	v_mov_b32_e32 v31, 0
	v_mov_b32_e32 v32, 0
	v_cmp_eq_u32_e64 s4, s4, v33
	s_and_saveexec_b32 s5, s4
	s_cbranch_execz .LBB3_65
; %bb.60:                               ;   in Loop: Header=BB3_3 Depth=1
	s_waitcnt lgkmcnt(0)
	global_load_dwordx2 v[27:28], v10, s[6:7] offset:24 glc dlc
	s_waitcnt vmcnt(0)
	buffer_gl1_inv
	buffer_gl0_inv
	s_clause 0x1
	global_load_dwordx2 v[25:26], v10, s[6:7] offset:40
	global_load_dwordx2 v[31:32], v10, s[6:7]
	s_mov_b32 s10, exec_lo
	s_waitcnt vmcnt(1)
	v_and_b32_e32 v9, v26, v28
	v_and_b32_e32 v25, v25, v27
	v_mul_lo_u32 v9, v9, 24
	v_mul_hi_u32 v26, v25, 24
	v_mul_lo_u32 v25, v25, 24
	v_add_nc_u32_e32 v9, v26, v9
	s_waitcnt vmcnt(0)
	v_add_co_u32 v25, vcc_lo, v31, v25
	v_add_co_ci_u32_e64 v26, null, v32, v9, vcc_lo
	global_load_dwordx2 v[25:26], v[25:26], off glc dlc
	s_waitcnt vmcnt(0)
	global_atomic_cmpswap_x2 v[31:32], v10, v[25:28], s[6:7] offset:24 glc
	s_waitcnt vmcnt(0)
	buffer_gl1_inv
	buffer_gl0_inv
	v_cmpx_ne_u64_e64 v[31:32], v[27:28]
	s_cbranch_execz .LBB3_64
; %bb.61:                               ;   in Loop: Header=BB3_3 Depth=1
	s_mov_b32 s11, 0
	.p2align	6
.LBB3_62:                               ;   Parent Loop BB3_3 Depth=1
                                        ; =>  This Inner Loop Header: Depth=2
	s_sleep 1
	s_clause 0x1
	global_load_dwordx2 v[25:26], v10, s[6:7] offset:40
	global_load_dwordx2 v[34:35], v10, s[6:7]
	v_mov_b32_e32 v27, v31
	v_mov_b32_e32 v28, v32
	s_waitcnt vmcnt(1)
	v_and_b32_e32 v9, v25, v27
	v_and_b32_e32 v25, v26, v28
	s_waitcnt vmcnt(0)
	v_mad_u64_u32 v[31:32], null, v9, 24, v[34:35]
	v_mov_b32_e32 v9, v32
	v_mad_u64_u32 v[25:26], null, v25, 24, v[9:10]
	v_mov_b32_e32 v32, v25
	global_load_dwordx2 v[25:26], v[31:32], off glc dlc
	s_waitcnt vmcnt(0)
	global_atomic_cmpswap_x2 v[31:32], v10, v[25:28], s[6:7] offset:24 glc
	s_waitcnt vmcnt(0)
	buffer_gl1_inv
	buffer_gl0_inv
	v_cmp_eq_u64_e32 vcc_lo, v[31:32], v[27:28]
	s_or_b32 s11, vcc_lo, s11
	s_andn2_b32 exec_lo, exec_lo, s11
	s_cbranch_execnz .LBB3_62
; %bb.63:                               ;   in Loop: Header=BB3_3 Depth=1
	s_or_b32 exec_lo, exec_lo, s11
.LBB3_64:                               ;   in Loop: Header=BB3_3 Depth=1
	s_or_b32 exec_lo, exec_lo, s10
.LBB3_65:                               ;   in Loop: Header=BB3_3 Depth=1
	s_or_b32 exec_lo, exec_lo, s5
	s_waitcnt lgkmcnt(0)
	s_clause 0x1
	global_load_dwordx2 v[34:35], v10, s[6:7] offset:40
	global_load_dwordx4 v[25:28], v10, s[6:7]
	v_readfirstlane_b32 s11, v32
	v_readfirstlane_b32 s10, v31
	s_mov_b32 s5, exec_lo
	s_waitcnt vmcnt(1)
	v_readfirstlane_b32 s12, v34
	v_readfirstlane_b32 s13, v35
	s_and_b64 s[12:13], s[12:13], s[10:11]
	s_mul_i32 s17, s13, 24
	s_mul_hi_u32 s18, s12, 24
	s_mul_i32 s19, s12, 24
	s_add_i32 s18, s18, s17
	s_waitcnt vmcnt(0)
	v_add_co_u32 v31, vcc_lo, v25, s19
	v_add_co_ci_u32_e64 v32, null, s18, v26, vcc_lo
	s_and_saveexec_b32 s17, s4
	s_cbranch_execz .LBB3_67
; %bb.66:                               ;   in Loop: Header=BB3_3 Depth=1
	v_mov_b32_e32 v9, s5
	global_store_dwordx4 v[31:32], v[9:12], off offset:8
.LBB3_67:                               ;   in Loop: Header=BB3_3 Depth=1
	s_or_b32 exec_lo, exec_lo, s17
	v_cmp_gt_u64_e32 vcc_lo, 57, v[4:5]
	s_lshl_b64 s[12:13], s[12:13], 12
	v_and_b32_e32 v0, 0xffffff1f, v0
	v_lshl_add_u32 v35, v29, 2, 28
	v_lshlrev_b32_e32 v34, 6, v33
	v_cndmask_b32_e32 v9, 0, v6, vcc_lo
	v_add_co_u32 v27, vcc_lo, v27, s12
	v_add_co_ci_u32_e64 v28, null, s13, v28, vcc_lo
	v_or_b32_e32 v0, v0, v9
	v_readfirstlane_b32 s12, v27
	v_readfirstlane_b32 s13, v28
	v_and_or_b32 v0, 0x1e0, v35, v0
	global_store_dwordx4 v34, v[13:16], s[12:13] offset:16
	global_store_dwordx4 v34, v[0:3], s[12:13]
	global_store_dwordx4 v34, v[17:20], s[12:13] offset:32
	global_store_dwordx4 v34, v[21:24], s[12:13] offset:48
	s_and_saveexec_b32 s5, s4
	s_cbranch_execz .LBB3_75
; %bb.68:                               ;   in Loop: Header=BB3_3 Depth=1
	s_clause 0x1
	global_load_dwordx2 v[17:18], v10, s[6:7] offset:32 glc dlc
	global_load_dwordx2 v[0:1], v10, s[6:7] offset:40
	v_mov_b32_e32 v15, s10
	v_mov_b32_e32 v16, s11
	s_waitcnt vmcnt(0)
	v_readfirstlane_b32 s12, v0
	v_readfirstlane_b32 s13, v1
	s_and_b64 s[12:13], s[12:13], s[10:11]
	s_mul_i32 s13, s13, 24
	s_mul_hi_u32 s17, s12, 24
	s_mul_i32 s12, s12, 24
	s_add_i32 s17, s17, s13
	v_add_co_u32 v13, vcc_lo, v25, s12
	v_add_co_ci_u32_e64 v14, null, s17, v26, vcc_lo
	s_mov_b32 s12, exec_lo
	global_store_dwordx2 v[13:14], v[17:18], off
	s_waitcnt_vscnt null, 0x0
	global_atomic_cmpswap_x2 v[2:3], v10, v[15:18], s[6:7] offset:32 glc
	s_waitcnt vmcnt(0)
	v_cmpx_ne_u64_e64 v[2:3], v[17:18]
	s_cbranch_execz .LBB3_71
; %bb.69:                               ;   in Loop: Header=BB3_3 Depth=1
	s_mov_b32 s13, 0
.LBB3_70:                               ;   Parent Loop BB3_3 Depth=1
                                        ; =>  This Inner Loop Header: Depth=2
	v_mov_b32_e32 v0, s10
	v_mov_b32_e32 v1, s11
	s_sleep 1
	global_store_dwordx2 v[13:14], v[2:3], off
	s_waitcnt_vscnt null, 0x0
	global_atomic_cmpswap_x2 v[0:1], v10, v[0:3], s[6:7] offset:32 glc
	s_waitcnt vmcnt(0)
	v_cmp_eq_u64_e32 vcc_lo, v[0:1], v[2:3]
	v_mov_b32_e32 v3, v1
	v_mov_b32_e32 v2, v0
	s_or_b32 s13, vcc_lo, s13
	s_andn2_b32 exec_lo, exec_lo, s13
	s_cbranch_execnz .LBB3_70
.LBB3_71:                               ;   in Loop: Header=BB3_3 Depth=1
	s_or_b32 exec_lo, exec_lo, s12
	global_load_dwordx2 v[0:1], v10, s[6:7] offset:16
	s_mov_b32 s13, exec_lo
	s_mov_b32 s12, exec_lo
	v_mbcnt_lo_u32_b32 v2, s13, 0
	v_cmpx_eq_u32_e32 0, v2
	s_cbranch_execz .LBB3_73
; %bb.72:                               ;   in Loop: Header=BB3_3 Depth=1
	s_bcnt1_i32_b32 s13, s13
	v_mov_b32_e32 v9, s13
	s_waitcnt vmcnt(0)
	global_atomic_add_x2 v[0:1], v[9:10], off offset:8
.LBB3_73:                               ;   in Loop: Header=BB3_3 Depth=1
	s_or_b32 exec_lo, exec_lo, s12
	s_waitcnt vmcnt(0)
	global_load_dwordx2 v[2:3], v[0:1], off offset:16
	s_waitcnt vmcnt(0)
	v_cmp_eq_u64_e32 vcc_lo, 0, v[2:3]
	s_cbranch_vccnz .LBB3_75
; %bb.74:                               ;   in Loop: Header=BB3_3 Depth=1
	global_load_dword v9, v[0:1], off offset:24
	s_waitcnt vmcnt(0)
	v_readfirstlane_b32 s12, v9
	s_waitcnt_vscnt null, 0x0
	global_store_dwordx2 v[2:3], v[9:10], off
	s_and_b32 m0, s12, 0x7fffff
	s_sendmsg sendmsg(MSG_INTERRUPT)
.LBB3_75:                               ;   in Loop: Header=BB3_3 Depth=1
	s_or_b32 exec_lo, exec_lo, s5
	v_add_co_u32 v0, vcc_lo, v27, v34
	v_add_co_ci_u32_e64 v1, null, 0, v28, vcc_lo
	s_branch .LBB3_79
	.p2align	6
.LBB3_76:                               ;   in Loop: Header=BB3_79 Depth=2
	s_or_b32 exec_lo, exec_lo, s5
	v_readfirstlane_b32 s5, v2
	s_cmp_eq_u32 s5, 0
	s_cbranch_scc1 .LBB3_78
; %bb.77:                               ;   in Loop: Header=BB3_79 Depth=2
	s_sleep 1
	s_cbranch_execnz .LBB3_79
	s_branch .LBB3_81
	.p2align	6
.LBB3_78:                               ;   in Loop: Header=BB3_3 Depth=1
	s_branch .LBB3_81
.LBB3_79:                               ;   Parent Loop BB3_3 Depth=1
                                        ; =>  This Inner Loop Header: Depth=2
	v_mov_b32_e32 v2, 1
	s_and_saveexec_b32 s5, s4
	s_cbranch_execz .LBB3_76
; %bb.80:                               ;   in Loop: Header=BB3_79 Depth=2
	global_load_dword v2, v[31:32], off offset:20 glc dlc
	s_waitcnt vmcnt(0)
	buffer_gl1_inv
	buffer_gl0_inv
	v_and_b32_e32 v2, 1, v2
	s_branch .LBB3_76
.LBB3_81:                               ;   in Loop: Header=BB3_3 Depth=1
	global_load_dwordx4 v[0:3], v[0:1], off
	s_and_saveexec_b32 s12, s4
	s_cbranch_execz .LBB3_2
; %bb.82:                               ;   in Loop: Header=BB3_3 Depth=1
	s_clause 0x2
	global_load_dwordx2 v[2:3], v10, s[6:7] offset:40
	global_load_dwordx2 v[17:18], v10, s[6:7] offset:24 glc dlc
	global_load_dwordx2 v[13:14], v10, s[6:7]
	s_waitcnt vmcnt(2)
	v_readfirstlane_b32 s18, v2
	v_readfirstlane_b32 s19, v3
	s_add_u32 s13, s18, 1
	s_addc_u32 s17, s19, 0
	s_add_u32 s4, s13, s10
	s_addc_u32 s5, s17, s11
	s_cmp_eq_u64 s[4:5], 0
	s_cselect_b32 s5, s17, s5
	s_cselect_b32 s4, s13, s4
	v_mov_b32_e32 v16, s5
	s_and_b64 s[10:11], s[4:5], s[18:19]
	v_mov_b32_e32 v15, s4
	s_mul_i32 s11, s11, 24
	s_mul_hi_u32 s13, s10, 24
	s_mul_i32 s10, s10, 24
	s_add_i32 s13, s13, s11
	s_waitcnt vmcnt(0)
	v_add_co_u32 v2, vcc_lo, v13, s10
	v_add_co_ci_u32_e64 v3, null, s13, v14, vcc_lo
	global_store_dwordx2 v[2:3], v[17:18], off
	s_waitcnt_vscnt null, 0x0
	global_atomic_cmpswap_x2 v[15:16], v10, v[15:18], s[6:7] offset:24 glc
	s_waitcnt vmcnt(0)
	v_cmp_ne_u64_e32 vcc_lo, v[15:16], v[17:18]
	s_and_b32 exec_lo, exec_lo, vcc_lo
	s_cbranch_execz .LBB3_2
; %bb.83:                               ;   in Loop: Header=BB3_3 Depth=1
	s_mov_b32 s10, 0
.LBB3_84:                               ;   Parent Loop BB3_3 Depth=1
                                        ; =>  This Inner Loop Header: Depth=2
	v_mov_b32_e32 v13, s4
	v_mov_b32_e32 v14, s5
	s_sleep 1
	global_store_dwordx2 v[2:3], v[15:16], off
	s_waitcnt_vscnt null, 0x0
	global_atomic_cmpswap_x2 v[13:14], v10, v[13:16], s[6:7] offset:24 glc
	s_waitcnt vmcnt(0)
	v_cmp_eq_u64_e32 vcc_lo, v[13:14], v[15:16]
	v_mov_b32_e32 v16, v14
	v_mov_b32_e32 v15, v13
	s_or_b32 s10, vcc_lo, s10
	s_andn2_b32 exec_lo, exec_lo, s10
	s_cbranch_execnz .LBB3_84
	s_branch .LBB3_2
.LBB3_85:
	s_or_b32 exec_lo, exec_lo, s16
                                        ; implicit-def: $vgpr0
                                        ; implicit-def: $vgpr33
                                        ; implicit-def: $vgpr1
.LBB3_86:
	s_andn2_saveexec_b32 s12, s14
	s_cbranch_execz .LBB3_109
; %bb.87:
	s_load_dwordx2 s[6:7], s[8:9], 0x50
	v_readfirstlane_b32 s4, v33
	v_mov_b32_e32 v8, 0
	v_mov_b32_e32 v9, 0
	v_cmp_eq_u32_e64 s4, s4, v33
	s_and_saveexec_b32 s5, s4
	s_cbranch_execz .LBB3_93
; %bb.88:
	s_waitcnt vmcnt(0)
	v_mov_b32_e32 v2, 0
	s_mov_b32 s8, exec_lo
	s_waitcnt lgkmcnt(0)
	global_load_dwordx2 v[5:6], v2, s[6:7] offset:24 glc dlc
	s_waitcnt vmcnt(0)
	buffer_gl1_inv
	buffer_gl0_inv
	s_clause 0x1
	global_load_dwordx2 v[3:4], v2, s[6:7] offset:40
	global_load_dwordx2 v[7:8], v2, s[6:7]
	s_waitcnt vmcnt(1)
	v_and_b32_e32 v4, v4, v6
	v_and_b32_e32 v3, v3, v5
	v_mul_lo_u32 v4, v4, 24
	v_mul_hi_u32 v9, v3, 24
	v_mul_lo_u32 v3, v3, 24
	v_add_nc_u32_e32 v4, v9, v4
	s_waitcnt vmcnt(0)
	v_add_co_u32 v3, vcc_lo, v7, v3
	v_add_co_ci_u32_e64 v4, null, v8, v4, vcc_lo
	global_load_dwordx2 v[3:4], v[3:4], off glc dlc
	s_waitcnt vmcnt(0)
	global_atomic_cmpswap_x2 v[8:9], v2, v[3:6], s[6:7] offset:24 glc
	s_waitcnt vmcnt(0)
	buffer_gl1_inv
	buffer_gl0_inv
	v_cmpx_ne_u64_e64 v[8:9], v[5:6]
	s_cbranch_execz .LBB3_92
; %bb.89:
	s_mov_b32 s9, 0
	.p2align	6
.LBB3_90:                               ; =>This Inner Loop Header: Depth=1
	s_sleep 1
	s_clause 0x1
	global_load_dwordx2 v[3:4], v2, s[6:7] offset:40
	global_load_dwordx2 v[10:11], v2, s[6:7]
	v_mov_b32_e32 v5, v8
	v_mov_b32_e32 v6, v9
	s_waitcnt vmcnt(1)
	v_and_b32_e32 v3, v3, v5
	v_and_b32_e32 v4, v4, v6
	s_waitcnt vmcnt(0)
	v_mad_u64_u32 v[7:8], null, v3, 24, v[10:11]
	v_mov_b32_e32 v3, v8
	v_mad_u64_u32 v[3:4], null, v4, 24, v[3:4]
	v_mov_b32_e32 v8, v3
	global_load_dwordx2 v[3:4], v[7:8], off glc dlc
	s_waitcnt vmcnt(0)
	global_atomic_cmpswap_x2 v[8:9], v2, v[3:6], s[6:7] offset:24 glc
	s_waitcnt vmcnt(0)
	buffer_gl1_inv
	buffer_gl0_inv
	v_cmp_eq_u64_e32 vcc_lo, v[8:9], v[5:6]
	s_or_b32 s9, vcc_lo, s9
	s_andn2_b32 exec_lo, exec_lo, s9
	s_cbranch_execnz .LBB3_90
; %bb.91:
	s_or_b32 exec_lo, exec_lo, s9
.LBB3_92:
	s_or_b32 exec_lo, exec_lo, s8
.LBB3_93:
	s_or_b32 exec_lo, exec_lo, s5
	s_waitcnt vmcnt(0)
	v_mov_b32_e32 v2, 0
	v_readfirstlane_b32 s9, v9
	v_readfirstlane_b32 s8, v8
	s_mov_b32 s5, exec_lo
	s_waitcnt lgkmcnt(0)
	s_clause 0x1
	global_load_dwordx2 v[10:11], v2, s[6:7] offset:40
	global_load_dwordx4 v[4:7], v2, s[6:7]
	s_waitcnt vmcnt(1)
	v_readfirstlane_b32 s10, v10
	v_readfirstlane_b32 s11, v11
	s_and_b64 s[10:11], s[10:11], s[8:9]
	s_mul_i32 s13, s11, 24
	s_mul_hi_u32 s14, s10, 24
	s_mul_i32 s15, s10, 24
	s_add_i32 s14, s14, s13
	s_waitcnt vmcnt(0)
	v_add_co_u32 v8, vcc_lo, v4, s15
	v_add_co_ci_u32_e64 v9, null, s14, v5, vcc_lo
	s_and_saveexec_b32 s13, s4
	s_cbranch_execz .LBB3_95
; %bb.94:
	v_mov_b32_e32 v10, s5
	v_mov_b32_e32 v11, v2
	;; [unrolled: 1-line block ×4, first 2 shown]
	global_store_dwordx4 v[8:9], v[10:13], off offset:8
.LBB3_95:
	s_or_b32 exec_lo, exec_lo, s13
	s_lshl_b64 s[10:11], s[10:11], 12
	s_mov_b32 s16, 0
	v_add_co_u32 v6, vcc_lo, v6, s10
	v_add_co_ci_u32_e64 v7, null, s11, v7, vcc_lo
	s_mov_b32 s17, s16
	s_mov_b32 s18, s16
	;; [unrolled: 1-line block ×3, first 2 shown]
	v_and_or_b32 v0, 0xffffff1f, v0, 32
	v_lshlrev_b32_e32 v14, 6, v33
	v_mov_b32_e32 v3, v2
	v_readfirstlane_b32 s10, v6
	v_readfirstlane_b32 s11, v7
	v_mov_b32_e32 v10, s16
	v_mov_b32_e32 v11, s17
	;; [unrolled: 1-line block ×4, first 2 shown]
	global_store_dwordx4 v14, v[0:3], s[10:11]
	global_store_dwordx4 v14, v[10:13], s[10:11] offset:16
	global_store_dwordx4 v14, v[10:13], s[10:11] offset:32
	;; [unrolled: 1-line block ×3, first 2 shown]
	s_and_saveexec_b32 s5, s4
	s_cbranch_execz .LBB3_103
; %bb.96:
	v_mov_b32_e32 v6, 0
	v_mov_b32_e32 v10, s8
	;; [unrolled: 1-line block ×3, first 2 shown]
	s_mov_b32 s10, exec_lo
	s_clause 0x1
	global_load_dwordx2 v[12:13], v6, s[6:7] offset:32 glc dlc
	global_load_dwordx2 v[0:1], v6, s[6:7] offset:40
	s_waitcnt vmcnt(0)
	v_and_b32_e32 v1, s9, v1
	v_and_b32_e32 v0, s8, v0
	v_mul_lo_u32 v1, v1, 24
	v_mul_hi_u32 v2, v0, 24
	v_mul_lo_u32 v0, v0, 24
	v_add_nc_u32_e32 v1, v2, v1
	v_add_co_u32 v4, vcc_lo, v4, v0
	v_add_co_ci_u32_e64 v5, null, v5, v1, vcc_lo
	global_store_dwordx2 v[4:5], v[12:13], off
	s_waitcnt_vscnt null, 0x0
	global_atomic_cmpswap_x2 v[2:3], v6, v[10:13], s[6:7] offset:32 glc
	s_waitcnt vmcnt(0)
	v_cmpx_ne_u64_e64 v[2:3], v[12:13]
	s_cbranch_execz .LBB3_99
; %bb.97:
	s_mov_b32 s11, 0
.LBB3_98:                               ; =>This Inner Loop Header: Depth=1
	v_mov_b32_e32 v0, s8
	v_mov_b32_e32 v1, s9
	s_sleep 1
	global_store_dwordx2 v[4:5], v[2:3], off
	s_waitcnt_vscnt null, 0x0
	global_atomic_cmpswap_x2 v[0:1], v6, v[0:3], s[6:7] offset:32 glc
	s_waitcnt vmcnt(0)
	v_cmp_eq_u64_e32 vcc_lo, v[0:1], v[2:3]
	v_mov_b32_e32 v3, v1
	v_mov_b32_e32 v2, v0
	s_or_b32 s11, vcc_lo, s11
	s_andn2_b32 exec_lo, exec_lo, s11
	s_cbranch_execnz .LBB3_98
.LBB3_99:
	s_or_b32 exec_lo, exec_lo, s10
	v_mov_b32_e32 v3, 0
	s_mov_b32 s11, exec_lo
	s_mov_b32 s10, exec_lo
	v_mbcnt_lo_u32_b32 v2, s11, 0
	global_load_dwordx2 v[0:1], v3, s[6:7] offset:16
	v_cmpx_eq_u32_e32 0, v2
	s_cbranch_execz .LBB3_101
; %bb.100:
	s_bcnt1_i32_b32 s11, s11
	v_mov_b32_e32 v2, s11
	s_waitcnt vmcnt(0)
	global_atomic_add_x2 v[0:1], v[2:3], off offset:8
.LBB3_101:
	s_or_b32 exec_lo, exec_lo, s10
	s_waitcnt vmcnt(0)
	global_load_dwordx2 v[2:3], v[0:1], off offset:16
	s_waitcnt vmcnt(0)
	v_cmp_eq_u64_e32 vcc_lo, 0, v[2:3]
	s_cbranch_vccnz .LBB3_103
; %bb.102:
	global_load_dword v0, v[0:1], off offset:24
	v_mov_b32_e32 v1, 0
	s_waitcnt vmcnt(0)
	v_readfirstlane_b32 s10, v0
	s_waitcnt_vscnt null, 0x0
	global_store_dwordx2 v[2:3], v[0:1], off
	s_and_b32 m0, s10, 0x7fffff
	s_sendmsg sendmsg(MSG_INTERRUPT)
.LBB3_103:
	s_or_b32 exec_lo, exec_lo, s5
	s_branch .LBB3_107
	.p2align	6
.LBB3_104:                              ;   in Loop: Header=BB3_107 Depth=1
	s_or_b32 exec_lo, exec_lo, s5
	v_readfirstlane_b32 s5, v0
	s_cmp_eq_u32 s5, 0
	s_cbranch_scc1 .LBB3_106
; %bb.105:                              ;   in Loop: Header=BB3_107 Depth=1
	s_sleep 1
	s_cbranch_execnz .LBB3_107
	s_branch .LBB3_110
	.p2align	6
.LBB3_106:
	s_branch .LBB3_110
.LBB3_107:                              ; =>This Inner Loop Header: Depth=1
	v_mov_b32_e32 v0, 1
	s_and_saveexec_b32 s5, s4
	s_cbranch_execz .LBB3_104
; %bb.108:                              ;   in Loop: Header=BB3_107 Depth=1
	global_load_dword v0, v[8:9], off offset:20 glc dlc
	s_waitcnt vmcnt(0)
	buffer_gl1_inv
	buffer_gl0_inv
	v_and_b32_e32 v0, 1, v0
	s_branch .LBB3_104
.LBB3_109:
	s_or_b32 exec_lo, exec_lo, s12
	s_waitcnt vmcnt(0) lgkmcnt(0)
	s_setpc_b64 s[30:31]
.LBB3_110:
	s_and_saveexec_b32 s10, s4
	s_cbranch_execz .LBB3_114
; %bb.111:
	v_mov_b32_e32 v6, 0
	s_clause 0x2
	global_load_dwordx2 v[0:1], v6, s[6:7] offset:40
	global_load_dwordx2 v[9:10], v6, s[6:7] offset:24 glc dlc
	global_load_dwordx2 v[2:3], v6, s[6:7]
	s_waitcnt vmcnt(2)
	v_readfirstlane_b32 s14, v0
	v_readfirstlane_b32 s15, v1
	s_add_u32 s11, s14, 1
	s_addc_u32 s13, s15, 0
	s_add_u32 s4, s11, s8
	s_addc_u32 s5, s13, s9
	s_cmp_eq_u64 s[4:5], 0
	s_cselect_b32 s5, s13, s5
	s_cselect_b32 s4, s11, s4
	v_mov_b32_e32 v8, s5
	s_and_b64 s[8:9], s[4:5], s[14:15]
	v_mov_b32_e32 v7, s4
	s_mul_i32 s9, s9, 24
	s_mul_hi_u32 s11, s8, 24
	s_mul_i32 s8, s8, 24
	s_add_i32 s11, s11, s9
	s_waitcnt vmcnt(0)
	v_add_co_u32 v4, vcc_lo, v2, s8
	v_add_co_ci_u32_e64 v5, null, s11, v3, vcc_lo
	global_store_dwordx2 v[4:5], v[9:10], off
	s_waitcnt_vscnt null, 0x0
	global_atomic_cmpswap_x2 v[2:3], v6, v[7:10], s[6:7] offset:24 glc
	s_waitcnt vmcnt(0)
	v_cmp_ne_u64_e32 vcc_lo, v[2:3], v[9:10]
	s_and_b32 exec_lo, exec_lo, vcc_lo
	s_cbranch_execz .LBB3_114
; %bb.112:
	s_mov_b32 s8, 0
.LBB3_113:                              ; =>This Inner Loop Header: Depth=1
	v_mov_b32_e32 v0, s4
	v_mov_b32_e32 v1, s5
	s_sleep 1
	global_store_dwordx2 v[4:5], v[2:3], off
	s_waitcnt_vscnt null, 0x0
	global_atomic_cmpswap_x2 v[0:1], v6, v[0:3], s[6:7] offset:24 glc
	s_waitcnt vmcnt(0)
	v_cmp_eq_u64_e32 vcc_lo, v[0:1], v[2:3]
	v_mov_b32_e32 v3, v1
	v_mov_b32_e32 v2, v0
	s_or_b32 s8, vcc_lo, s8
	s_andn2_b32 exec_lo, exec_lo, s8
	s_cbranch_execnz .LBB3_113
.LBB3_114:
	s_or_b32 exec_lo, exec_lo, s10
	s_or_b32 exec_lo, exec_lo, s12
	s_waitcnt lgkmcnt(0)
	s_setpc_b64 s[30:31]
.Lfunc_end3:
	.size	__ockl_fprintf_append_string_n, .Lfunc_end3-__ockl_fprintf_append_string_n
                                        ; -- End function
	.set .L__ockl_fprintf_append_string_n.num_vgpr, 36
	.set .L__ockl_fprintf_append_string_n.num_agpr, 0
	.set .L__ockl_fprintf_append_string_n.numbered_sgpr, 32
	.set .L__ockl_fprintf_append_string_n.num_named_barrier, 0
	.set .L__ockl_fprintf_append_string_n.private_seg_size, 0
	.set .L__ockl_fprintf_append_string_n.uses_vcc, 1
	.set .L__ockl_fprintf_append_string_n.uses_flat_scratch, 0
	.set .L__ockl_fprintf_append_string_n.has_dyn_sized_stack, 0
	.set .L__ockl_fprintf_append_string_n.has_recursion, 0
	.set .L__ockl_fprintf_append_string_n.has_indirect_call, 0
	.section	.AMDGPU.csdata,"",@progbits
; Function info:
; codeLenInByte = 4532
; TotalNumSgprs: 34
; NumVgprs: 36
; ScratchSize: 0
; MemoryBound: 0
	.text
	.p2align	2                               ; -- Begin function __assert_fail
	.type	__assert_fail,@function
__assert_fail:                          ; @__assert_fail
; %bb.0:
	s_waitcnt vmcnt(0) expcnt(0) lgkmcnt(0)
	s_mov_b32 s24, s33
	s_mov_b32 s33, s32
	s_or_saveexec_b32 s4, -1
	buffer_store_dword v40, off, s[0:3], s33 offset:48 ; 4-byte Folded Spill
	s_mov_b32 exec_lo, s4
	v_writelane_b32 v40, s30, 0
	s_addk_i32 s32, 0x800
	v_writelane_b32 v40, s31, 1
	v_mov_b32_e32 v6, v3
	v_mov_b32_e32 v3, 0
	s_getpc_b64 s[4:5]
	s_add_u32 s4, s4, __const.__assert_fail.fmt@rel32@lo+35
	s_addc_u32 s5, s5, __const.__assert_fail.fmt@rel32@hi+43
	v_mbcnt_lo_u32_b32 v36, -1, 0
	v_mov_b32_e32 v9, v1
	v_mov_b32_e32 v8, v0
	global_load_dwordx4 v[10:13], v3, s[4:5]
	s_getpc_b64 s[4:5]
	s_add_u32 s4, s4, __const.__assert_fail.fmt@rel32@lo+4
	s_addc_u32 s5, s5, __const.__assert_fail.fmt@rel32@hi+12
	s_getpc_b64 s[6:7]
	s_add_u32 s6, s6, __const.__assert_fail.fmt@rel32@lo+20
	s_addc_u32 s7, s7, __const.__assert_fail.fmt@rel32@hi+28
	s_clause 0x1
	s_load_dwordx4 s[12:15], s[4:5], 0x0
	s_load_dwordx4 s[16:19], s[6:7], 0x0
	s_load_dwordx2 s[6:7], s[8:9], 0x50
	v_readfirstlane_b32 s4, v36
	v_mov_b32_e32 v0, 0
	v_mov_b32_e32 v7, v4
	;; [unrolled: 1-line block ×3, first 2 shown]
	v_cmp_eq_u32_e64 s4, s4, v36
	s_waitcnt lgkmcnt(0)
	v_mov_b32_e32 v4, s15
	v_mov_b32_e32 v5, s14
	;; [unrolled: 1-line block ×8, first 2 shown]
	buffer_store_dword v4, off, s[0:3], s33 offset:12
	buffer_store_dword v5, off, s[0:3], s33 offset:8
	;; [unrolled: 1-line block ×3, first 2 shown]
	buffer_store_dword v15, off, s[0:3], s33
	buffer_store_dword v16, off, s[0:3], s33 offset:28
	buffer_store_dword v17, off, s[0:3], s33 offset:24
	;; [unrolled: 1-line block ×4, first 2 shown]
	s_waitcnt vmcnt(0)
	buffer_store_dword v13, off, s[0:3], s33 offset:43
	buffer_store_dword v12, off, s[0:3], s33 offset:39
	;; [unrolled: 1-line block ×4, first 2 shown]
	s_and_saveexec_b32 s5, s4
	s_cbranch_execz .LBB4_6
; %bb.1:
	global_load_dwordx2 v[12:13], v3, s[6:7] offset:24 glc dlc
	s_waitcnt vmcnt(0)
	buffer_gl1_inv
	buffer_gl0_inv
	s_clause 0x1
	global_load_dwordx2 v[0:1], v3, s[6:7] offset:40
	global_load_dwordx2 v[4:5], v3, s[6:7]
	s_mov_b32 s10, exec_lo
	s_waitcnt vmcnt(1)
	v_and_b32_e32 v1, v1, v13
	v_and_b32_e32 v0, v0, v12
	v_mul_lo_u32 v1, v1, 24
	v_mul_hi_u32 v10, v0, 24
	v_mul_lo_u32 v0, v0, 24
	v_add_nc_u32_e32 v1, v10, v1
	s_waitcnt vmcnt(0)
	v_add_co_u32 v0, vcc_lo, v4, v0
	v_add_co_ci_u32_e64 v1, null, v5, v1, vcc_lo
	global_load_dwordx2 v[10:11], v[0:1], off glc dlc
	s_waitcnt vmcnt(0)
	global_atomic_cmpswap_x2 v[0:1], v3, v[10:13], s[6:7] offset:24 glc
	s_waitcnt vmcnt(0)
	buffer_gl1_inv
	buffer_gl0_inv
	v_cmpx_ne_u64_e64 v[0:1], v[12:13]
	s_cbranch_execz .LBB4_5
; %bb.2:
	v_mov_b32_e32 v4, 0
	s_mov_b32 s11, 0
	.p2align	6
.LBB4_3:                                ; =>This Inner Loop Header: Depth=1
	s_sleep 1
	s_clause 0x1
	global_load_dwordx2 v[10:11], v4, s[6:7] offset:40
	global_load_dwordx2 v[14:15], v4, s[6:7]
	v_mov_b32_e32 v13, v1
	v_mov_b32_e32 v12, v0
	s_waitcnt vmcnt(1)
	v_and_b32_e32 v0, v10, v12
	v_and_b32_e32 v5, v11, v13
	s_waitcnt vmcnt(0)
	v_mad_u64_u32 v[0:1], null, v0, 24, v[14:15]
	v_mad_u64_u32 v[10:11], null, v5, 24, v[1:2]
	v_mov_b32_e32 v1, v10
	global_load_dwordx2 v[10:11], v[0:1], off glc dlc
	s_waitcnt vmcnt(0)
	global_atomic_cmpswap_x2 v[0:1], v4, v[10:13], s[6:7] offset:24 glc
	s_waitcnt vmcnt(0)
	buffer_gl1_inv
	buffer_gl0_inv
	v_cmp_eq_u64_e32 vcc_lo, v[0:1], v[12:13]
	s_or_b32 s11, vcc_lo, s11
	s_andn2_b32 exec_lo, exec_lo, s11
	s_cbranch_execnz .LBB4_3
; %bb.4:
	s_or_b32 exec_lo, exec_lo, s11
.LBB4_5:
	s_or_b32 exec_lo, exec_lo, s10
.LBB4_6:
	s_or_b32 exec_lo, exec_lo, s5
	s_clause 0x1
	global_load_dwordx2 v[4:5], v3, s[6:7] offset:40
	global_load_dwordx4 v[10:13], v3, s[6:7]
	v_readfirstlane_b32 s11, v1
	v_readfirstlane_b32 s10, v0
	s_mov_b32 s5, exec_lo
	s_waitcnt vmcnt(1)
	v_readfirstlane_b32 s12, v4
	v_readfirstlane_b32 s13, v5
	s_and_b64 s[12:13], s[12:13], s[10:11]
	s_mul_i32 s14, s13, 24
	s_mul_hi_u32 s15, s12, 24
	s_mul_i32 s16, s12, 24
	s_add_i32 s15, s15, s14
	s_waitcnt vmcnt(0)
	v_add_co_u32 v0, vcc_lo, v10, s16
	v_add_co_ci_u32_e64 v1, null, s15, v11, vcc_lo
	s_and_saveexec_b32 s14, s4
	s_cbranch_execz .LBB4_8
; %bb.7:
	v_mov_b32_e32 v14, s5
	v_mov_b32_e32 v15, 0
	;; [unrolled: 1-line block ×4, first 2 shown]
	global_store_dwordx4 v[0:1], v[14:17], off offset:8
.LBB4_8:
	s_or_b32 exec_lo, exec_lo, s14
	s_lshl_b64 s[12:13], s[12:13], 12
	v_lshlrev_b32_e32 v37, 6, v36
	v_add_co_u32 v3, vcc_lo, v12, s12
	v_add_co_ci_u32_e64 v4, null, s13, v13, vcc_lo
	v_mov_b32_e32 v13, 0
	s_mov_b32 s12, 0
	v_readfirstlane_b32 s16, v3
	s_mov_b32 s15, s12
	v_add_co_u32 v3, vcc_lo, v3, v37
	s_mov_b32 s13, s12
	s_mov_b32 s14, s12
	v_mov_b32_e32 v12, 33
	v_mov_b32_e32 v14, 1
	;; [unrolled: 1-line block ×3, first 2 shown]
	v_readfirstlane_b32 s17, v4
	v_mov_b32_e32 v19, s15
	v_add_co_ci_u32_e64 v4, null, 0, v4, vcc_lo
	v_mov_b32_e32 v18, s14
	v_mov_b32_e32 v17, s13
	;; [unrolled: 1-line block ×3, first 2 shown]
	global_store_dwordx4 v37, v[12:15], s[16:17]
	global_store_dwordx4 v37, v[16:19], s[16:17] offset:16
	global_store_dwordx4 v37, v[16:19], s[16:17] offset:32
	;; [unrolled: 1-line block ×3, first 2 shown]
	s_and_saveexec_b32 s5, s4
	s_cbranch_execz .LBB4_16
; %bb.9:
	s_clause 0x1
	global_load_dwordx2 v[18:19], v13, s[6:7] offset:32 glc dlc
	global_load_dwordx2 v[14:15], v13, s[6:7] offset:40
	v_mov_b32_e32 v16, s10
	v_mov_b32_e32 v17, s11
	s_mov_b32 s12, exec_lo
	s_waitcnt vmcnt(0)
	v_and_b32_e32 v5, s11, v15
	v_and_b32_e32 v12, s10, v14
	v_mul_lo_u32 v5, v5, 24
	v_mul_hi_u32 v14, v12, 24
	v_mul_lo_u32 v12, v12, 24
	v_add_nc_u32_e32 v5, v14, v5
	v_add_co_u32 v14, vcc_lo, v10, v12
	v_add_co_ci_u32_e64 v15, null, v11, v5, vcc_lo
	global_store_dwordx2 v[14:15], v[18:19], off
	s_waitcnt_vscnt null, 0x0
	global_atomic_cmpswap_x2 v[12:13], v13, v[16:19], s[6:7] offset:32 glc
	s_waitcnt vmcnt(0)
	v_cmpx_ne_u64_e64 v[12:13], v[18:19]
	s_cbranch_execz .LBB4_12
; %bb.10:
	v_mov_b32_e32 v5, 0
	s_mov_b32 s13, 0
.LBB4_11:                               ; =>This Inner Loop Header: Depth=1
	v_mov_b32_e32 v10, s10
	v_mov_b32_e32 v11, s11
	s_sleep 1
	global_store_dwordx2 v[14:15], v[12:13], off
	s_waitcnt_vscnt null, 0x0
	global_atomic_cmpswap_x2 v[10:11], v5, v[10:13], s[6:7] offset:32 glc
	s_waitcnt vmcnt(0)
	v_cmp_eq_u64_e32 vcc_lo, v[10:11], v[12:13]
	v_mov_b32_e32 v13, v11
	v_mov_b32_e32 v12, v10
	s_or_b32 s13, vcc_lo, s13
	s_andn2_b32 exec_lo, exec_lo, s13
	s_cbranch_execnz .LBB4_11
.LBB4_12:
	s_or_b32 exec_lo, exec_lo, s12
	v_mov_b32_e32 v13, 0
	s_mov_b32 s13, exec_lo
	s_mov_b32 s12, exec_lo
	v_mbcnt_lo_u32_b32 v5, s13, 0
	global_load_dwordx2 v[10:11], v13, s[6:7] offset:16
	v_cmpx_eq_u32_e32 0, v5
	s_cbranch_execz .LBB4_14
; %bb.13:
	s_bcnt1_i32_b32 s13, s13
	v_mov_b32_e32 v12, s13
	s_waitcnt vmcnt(0)
	global_atomic_add_x2 v[10:11], v[12:13], off offset:8
.LBB4_14:
	s_or_b32 exec_lo, exec_lo, s12
	s_waitcnt vmcnt(0)
	global_load_dwordx2 v[12:13], v[10:11], off offset:16
	s_waitcnt vmcnt(0)
	v_cmp_eq_u64_e32 vcc_lo, 0, v[12:13]
	s_cbranch_vccnz .LBB4_16
; %bb.15:
	global_load_dword v10, v[10:11], off offset:24
	v_mov_b32_e32 v11, 0
	s_waitcnt vmcnt(0)
	v_readfirstlane_b32 s12, v10
	s_waitcnt_vscnt null, 0x0
	global_store_dwordx2 v[12:13], v[10:11], off
	s_and_b32 m0, s12, 0x7fffff
	s_sendmsg sendmsg(MSG_INTERRUPT)
.LBB4_16:
	s_or_b32 exec_lo, exec_lo, s5
	s_branch .LBB4_20
	.p2align	6
.LBB4_17:                               ;   in Loop: Header=BB4_20 Depth=1
	s_or_b32 exec_lo, exec_lo, s5
	v_readfirstlane_b32 s5, v5
	s_cmp_eq_u32 s5, 0
	s_cbranch_scc1 .LBB4_19
; %bb.18:                               ;   in Loop: Header=BB4_20 Depth=1
	s_sleep 1
	s_cbranch_execnz .LBB4_20
	s_branch .LBB4_22
	.p2align	6
.LBB4_19:
	s_branch .LBB4_22
.LBB4_20:                               ; =>This Inner Loop Header: Depth=1
	v_mov_b32_e32 v5, 1
	s_and_saveexec_b32 s5, s4
	s_cbranch_execz .LBB4_17
; %bb.21:                               ;   in Loop: Header=BB4_20 Depth=1
	global_load_dword v5, v[0:1], off offset:20 glc dlc
	s_waitcnt vmcnt(0)
	buffer_gl1_inv
	buffer_gl0_inv
	v_and_b32_e32 v5, 1, v5
	s_branch .LBB4_17
.LBB4_22:
	global_load_dwordx2 v[14:15], v[3:4], off
	s_and_saveexec_b32 s12, s4
	s_cbranch_execz .LBB4_26
; %bb.23:
	v_mov_b32_e32 v3, 0
	s_clause 0x2
	global_load_dwordx2 v[0:1], v3, s[6:7] offset:40
	global_load_dwordx2 v[18:19], v3, s[6:7] offset:24 glc dlc
	global_load_dwordx2 v[4:5], v3, s[6:7]
	s_waitcnt vmcnt(2)
	v_readfirstlane_b32 s14, v0
	v_readfirstlane_b32 s15, v1
	s_add_u32 s13, s14, 1
	s_addc_u32 s16, s15, 0
	s_add_u32 s4, s13, s10
	s_addc_u32 s5, s16, s11
	s_cmp_eq_u64 s[4:5], 0
	s_cselect_b32 s5, s16, s5
	s_cselect_b32 s4, s13, s4
	v_mov_b32_e32 v17, s5
	s_and_b64 s[10:11], s[4:5], s[14:15]
	v_mov_b32_e32 v16, s4
	s_mul_i32 s11, s11, 24
	s_mul_hi_u32 s13, s10, 24
	s_mul_i32 s10, s10, 24
	s_add_i32 s13, s13, s11
	s_waitcnt vmcnt(0)
	v_add_co_u32 v0, vcc_lo, v4, s10
	v_add_co_ci_u32_e64 v1, null, s13, v5, vcc_lo
	global_store_dwordx2 v[0:1], v[18:19], off
	s_waitcnt_vscnt null, 0x0
	global_atomic_cmpswap_x2 v[12:13], v3, v[16:19], s[6:7] offset:24 glc
	s_waitcnt vmcnt(0)
	v_cmp_ne_u64_e32 vcc_lo, v[12:13], v[18:19]
	s_and_b32 exec_lo, exec_lo, vcc_lo
	s_cbranch_execz .LBB4_26
; %bb.24:
	s_mov_b32 s10, 0
.LBB4_25:                               ; =>This Inner Loop Header: Depth=1
	v_mov_b32_e32 v10, s4
	v_mov_b32_e32 v11, s5
	s_sleep 1
	global_store_dwordx2 v[0:1], v[12:13], off
	s_waitcnt_vscnt null, 0x0
	global_atomic_cmpswap_x2 v[4:5], v3, v[10:13], s[6:7] offset:24 glc
	s_waitcnt vmcnt(0)
	v_cmp_eq_u64_e32 vcc_lo, v[4:5], v[12:13]
	v_mov_b32_e32 v13, v5
	v_mov_b32_e32 v12, v4
	s_or_b32 s10, vcc_lo, s10
	s_andn2_b32 exec_lo, exec_lo, s10
	s_cbranch_execnz .LBB4_25
.LBB4_26:
	s_or_b32 exec_lo, exec_lo, s12
	s_lshr_b32 s5, s33, 5
	s_mov_b32 s4, 0
.LBB4_27:                               ; =>This Inner Loop Header: Depth=1
	v_mov_b32_e32 v0, s5
	s_add_i32 s5, s5, 1
	buffer_load_ubyte v0, v0, s[0:3], 0 offen
	s_waitcnt vmcnt(0)
	v_cmp_eq_u16_e32 vcc_lo, 0, v0
	v_mov_b32_e32 v0, s5
	s_or_b32 s4, vcc_lo, s4
	s_andn2_b32 exec_lo, exec_lo, s4
	s_cbranch_execnz .LBB4_27
; %bb.28:
	s_or_b32 exec_lo, exec_lo, s4
	s_lshr_b32 s4, s33, 5
	s_cmp_lg_u32 s4, -1
	s_cbranch_scc0 .LBB4_113
; %bb.29:
	v_lshrrev_b32_e64 v1, 5, s33
	v_and_b32_e32 v5, 2, v14
	v_mov_b32_e32 v17, 0
	v_and_b32_e32 v10, -3, v14
	v_mov_b32_e32 v11, v15
	v_subrev_nc_u32_e32 v0, v1, v0
	v_lshrrev_b32_e64 v38, 5, s33
	v_mov_b32_e32 v18, 2
	v_mov_b32_e32 v19, 1
	s_mov_b32 s15, 0
	v_ashrrev_i32_e32 v1, 31, v0
	s_mov_b32 s14, 0
	s_branch .LBB4_31
.LBB4_30:                               ;   in Loop: Header=BB4_31 Depth=1
	s_or_b32 exec_lo, exec_lo, s12
	v_sub_co_u32 v0, vcc_lo, v0, v39
	v_sub_co_ci_u32_e64 v1, null, v1, v34, vcc_lo
	v_add_nc_u32_e32 v38, v38, v39
	v_cmp_eq_u64_e32 vcc_lo, 0, v[0:1]
	s_or_b32 s14, vcc_lo, s14
	s_andn2_b32 exec_lo, exec_lo, s14
	s_cbranch_execz .LBB4_114
.LBB4_31:                               ; =>This Loop Header: Depth=1
                                        ;     Child Loop BB4_34 Depth 2
                                        ;     Child Loop BB4_42 Depth 2
	;; [unrolled: 1-line block ×11, first 2 shown]
	v_cmp_gt_u64_e32 vcc_lo, 56, v[0:1]
	v_add_nc_u32_e32 v4, 8, v38
	s_mov_b32 s5, exec_lo
	v_cndmask_b32_e32 v39, 56, v0, vcc_lo
	v_cmpx_gt_u64_e32 8, v[0:1]
	s_xor_b32 s5, exec_lo, s5
	s_cbranch_execz .LBB4_37
; %bb.32:                               ;   in Loop: Header=BB4_31 Depth=1
	v_mov_b32_e32 v12, 0
	v_mov_b32_e32 v13, 0
	s_mov_b32 s12, exec_lo
	v_cmpx_ne_u64_e32 0, v[0:1]
	s_cbranch_execz .LBB4_36
; %bb.33:                               ;   in Loop: Header=BB4_31 Depth=1
	v_mov_b32_e32 v12, 0
	v_mov_b32_e32 v13, 0
	s_mov_b64 s[10:11], 0
	s_mov_b32 s13, 0
	s_mov_b32 s16, 0
	.p2align	6
.LBB4_34:                               ;   Parent Loop BB4_31 Depth=1
                                        ; =>  This Inner Loop Header: Depth=2
	v_add_nc_u32_e32 v3, s16, v38
	v_mov_b32_e32 v4, s15
	s_add_i32 s16, s16, 1
	v_cmp_eq_u32_e64 s4, s16, v39
	buffer_load_ubyte v3, v3, s[0:3], 0 offen
	s_waitcnt vmcnt(0)
	v_and_b32_e32 v3, 0xffff, v3
	v_lshlrev_b64 v[3:4], s10, v[3:4]
	s_add_u32 s10, s10, 8
	s_addc_u32 s11, s11, 0
	s_or_b32 s13, s4, s13
	v_or_b32_e32 v13, v4, v13
	v_or_b32_e32 v12, v3, v12
	s_andn2_b32 exec_lo, exec_lo, s13
	s_cbranch_execnz .LBB4_34
; %bb.35:                               ;   in Loop: Header=BB4_31 Depth=1
	s_or_b32 exec_lo, exec_lo, s13
.LBB4_36:                               ;   in Loop: Header=BB4_31 Depth=1
	s_or_b32 exec_lo, exec_lo, s12
	v_mov_b32_e32 v4, v38
.LBB4_37:                               ;   in Loop: Header=BB4_31 Depth=1
	s_or_saveexec_b32 s4, s5
	v_mov_b32_e32 v16, 0
	s_xor_b32 exec_lo, exec_lo, s4
	s_cbranch_execz .LBB4_39
; %bb.38:                               ;   in Loop: Header=BB4_31 Depth=1
	s_clause 0x1
	buffer_load_dword v12, v38, s[0:3], 0 offen
	buffer_load_dword v13, v38, s[0:3], 0 offen offset:4
	v_add_nc_u32_e32 v16, -8, v39
.LBB4_39:                               ;   in Loop: Header=BB4_31 Depth=1
	s_or_b32 exec_lo, exec_lo, s4
	v_add_nc_u32_e32 v3, 8, v4
	s_mov_b32 s5, exec_lo
                                        ; implicit-def: $vgpr20_vgpr21
	v_cmpx_gt_u32_e32 8, v16
	s_xor_b32 s5, exec_lo, s5
	s_cbranch_execz .LBB4_45
; %bb.40:                               ;   in Loop: Header=BB4_31 Depth=1
	v_mov_b32_e32 v20, 0
	v_mov_b32_e32 v21, 0
	s_mov_b32 s12, exec_lo
	v_cmpx_ne_u32_e32 0, v16
	s_cbranch_execz .LBB4_44
; %bb.41:                               ;   in Loop: Header=BB4_31 Depth=1
	v_mov_b32_e32 v20, 0
	v_mov_b32_e32 v21, 0
	s_mov_b64 s[10:11], 0
	s_mov_b32 s13, 0
	s_mov_b32 s16, 0
	.p2align	6
.LBB4_42:                               ;   Parent Loop BB4_31 Depth=1
                                        ; =>  This Inner Loop Header: Depth=2
	v_add_nc_u32_e32 v3, s16, v4
	v_mov_b32_e32 v23, s15
	s_add_i32 s16, s16, 1
	v_cmp_eq_u32_e64 s4, s16, v16
	buffer_load_ubyte v3, v3, s[0:3], 0 offen
	s_waitcnt vmcnt(0)
	v_and_b32_e32 v22, 0xffff, v3
	v_lshlrev_b64 v[22:23], s10, v[22:23]
	s_add_u32 s10, s10, 8
	s_addc_u32 s11, s11, 0
	s_or_b32 s13, s4, s13
	v_or_b32_e32 v21, v23, v21
	v_or_b32_e32 v20, v22, v20
	s_andn2_b32 exec_lo, exec_lo, s13
	s_cbranch_execnz .LBB4_42
; %bb.43:                               ;   in Loop: Header=BB4_31 Depth=1
	s_or_b32 exec_lo, exec_lo, s13
.LBB4_44:                               ;   in Loop: Header=BB4_31 Depth=1
	s_or_b32 exec_lo, exec_lo, s12
	v_mov_b32_e32 v3, v4
                                        ; implicit-def: $vgpr16
.LBB4_45:                               ;   in Loop: Header=BB4_31 Depth=1
	s_or_saveexec_b32 s4, s5
	v_mov_b32_e32 v24, 0
	s_xor_b32 exec_lo, exec_lo, s4
	s_cbranch_execz .LBB4_47
; %bb.46:                               ;   in Loop: Header=BB4_31 Depth=1
	s_clause 0x1
	buffer_load_dword v20, v4, s[0:3], 0 offen
	buffer_load_dword v21, v4, s[0:3], 0 offen offset:4
	v_add_nc_u32_e32 v24, -8, v16
.LBB4_47:                               ;   in Loop: Header=BB4_31 Depth=1
	s_or_b32 exec_lo, exec_lo, s4
	v_add_nc_u32_e32 v4, 8, v3
	s_mov_b32 s5, exec_lo
	v_cmpx_gt_u32_e32 8, v24
	s_xor_b32 s5, exec_lo, s5
	s_cbranch_execz .LBB4_53
; %bb.48:                               ;   in Loop: Header=BB4_31 Depth=1
	v_mov_b32_e32 v22, 0
	v_mov_b32_e32 v23, 0
	s_mov_b32 s12, exec_lo
	v_cmpx_ne_u32_e32 0, v24
	s_cbranch_execz .LBB4_52
; %bb.49:                               ;   in Loop: Header=BB4_31 Depth=1
	v_mov_b32_e32 v22, 0
	v_mov_b32_e32 v23, 0
	s_mov_b64 s[10:11], 0
	s_mov_b32 s13, 0
	s_mov_b32 s16, 0
	.p2align	6
.LBB4_50:                               ;   Parent Loop BB4_31 Depth=1
                                        ; =>  This Inner Loop Header: Depth=2
	v_add_nc_u32_e32 v4, s16, v3
	v_mov_b32_e32 v26, s15
	s_add_i32 s16, s16, 1
	v_cmp_eq_u32_e64 s4, s16, v24
	buffer_load_ubyte v4, v4, s[0:3], 0 offen
	s_waitcnt vmcnt(0)
	v_and_b32_e32 v25, 0xffff, v4
	v_lshlrev_b64 v[25:26], s10, v[25:26]
	s_add_u32 s10, s10, 8
	s_addc_u32 s11, s11, 0
	s_or_b32 s13, s4, s13
	v_or_b32_e32 v23, v26, v23
	v_or_b32_e32 v22, v25, v22
	s_andn2_b32 exec_lo, exec_lo, s13
	s_cbranch_execnz .LBB4_50
; %bb.51:                               ;   in Loop: Header=BB4_31 Depth=1
	s_or_b32 exec_lo, exec_lo, s13
.LBB4_52:                               ;   in Loop: Header=BB4_31 Depth=1
	s_or_b32 exec_lo, exec_lo, s12
	v_mov_b32_e32 v4, v3
                                        ; implicit-def: $vgpr24
.LBB4_53:                               ;   in Loop: Header=BB4_31 Depth=1
	s_or_saveexec_b32 s4, s5
	v_mov_b32_e32 v16, 0
	s_xor_b32 exec_lo, exec_lo, s4
	s_cbranch_execz .LBB4_55
; %bb.54:                               ;   in Loop: Header=BB4_31 Depth=1
	s_clause 0x1
	buffer_load_dword v22, v3, s[0:3], 0 offen
	buffer_load_dword v23, v3, s[0:3], 0 offen offset:4
	v_add_nc_u32_e32 v16, -8, v24
.LBB4_55:                               ;   in Loop: Header=BB4_31 Depth=1
	s_or_b32 exec_lo, exec_lo, s4
	v_add_nc_u32_e32 v3, 8, v4
	s_mov_b32 s5, exec_lo
                                        ; implicit-def: $vgpr24_vgpr25
	v_cmpx_gt_u32_e32 8, v16
	s_xor_b32 s5, exec_lo, s5
	s_cbranch_execz .LBB4_61
; %bb.56:                               ;   in Loop: Header=BB4_31 Depth=1
	v_mov_b32_e32 v24, 0
	v_mov_b32_e32 v25, 0
	s_mov_b32 s12, exec_lo
	v_cmpx_ne_u32_e32 0, v16
	s_cbranch_execz .LBB4_60
; %bb.57:                               ;   in Loop: Header=BB4_31 Depth=1
	v_mov_b32_e32 v24, 0
	v_mov_b32_e32 v25, 0
	s_mov_b64 s[10:11], 0
	s_mov_b32 s13, 0
	s_mov_b32 s16, 0
	.p2align	6
.LBB4_58:                               ;   Parent Loop BB4_31 Depth=1
                                        ; =>  This Inner Loop Header: Depth=2
	v_add_nc_u32_e32 v3, s16, v4
	v_mov_b32_e32 v27, s15
	s_add_i32 s16, s16, 1
	v_cmp_eq_u32_e64 s4, s16, v16
	buffer_load_ubyte v3, v3, s[0:3], 0 offen
	s_waitcnt vmcnt(0)
	v_and_b32_e32 v26, 0xffff, v3
	v_lshlrev_b64 v[26:27], s10, v[26:27]
	s_add_u32 s10, s10, 8
	s_addc_u32 s11, s11, 0
	s_or_b32 s13, s4, s13
	v_or_b32_e32 v25, v27, v25
	v_or_b32_e32 v24, v26, v24
	s_andn2_b32 exec_lo, exec_lo, s13
	s_cbranch_execnz .LBB4_58
; %bb.59:                               ;   in Loop: Header=BB4_31 Depth=1
	s_or_b32 exec_lo, exec_lo, s13
.LBB4_60:                               ;   in Loop: Header=BB4_31 Depth=1
	s_or_b32 exec_lo, exec_lo, s12
	v_mov_b32_e32 v3, v4
                                        ; implicit-def: $vgpr16
.LBB4_61:                               ;   in Loop: Header=BB4_31 Depth=1
	s_or_saveexec_b32 s4, s5
	v_mov_b32_e32 v28, 0
	s_xor_b32 exec_lo, exec_lo, s4
	s_cbranch_execz .LBB4_63
; %bb.62:                               ;   in Loop: Header=BB4_31 Depth=1
	s_clause 0x1
	buffer_load_dword v24, v4, s[0:3], 0 offen
	buffer_load_dword v25, v4, s[0:3], 0 offen offset:4
	v_add_nc_u32_e32 v28, -8, v16
.LBB4_63:                               ;   in Loop: Header=BB4_31 Depth=1
	s_or_b32 exec_lo, exec_lo, s4
	v_add_nc_u32_e32 v4, 8, v3
	s_mov_b32 s5, exec_lo
	v_cmpx_gt_u32_e32 8, v28
	s_xor_b32 s5, exec_lo, s5
	s_cbranch_execz .LBB4_69
; %bb.64:                               ;   in Loop: Header=BB4_31 Depth=1
	v_mov_b32_e32 v26, 0
	v_mov_b32_e32 v27, 0
	s_mov_b32 s12, exec_lo
	v_cmpx_ne_u32_e32 0, v28
	s_cbranch_execz .LBB4_68
; %bb.65:                               ;   in Loop: Header=BB4_31 Depth=1
	v_mov_b32_e32 v26, 0
	v_mov_b32_e32 v27, 0
	s_mov_b64 s[10:11], 0
	s_mov_b32 s13, 0
	s_mov_b32 s16, 0
	.p2align	6
.LBB4_66:                               ;   Parent Loop BB4_31 Depth=1
                                        ; =>  This Inner Loop Header: Depth=2
	v_add_nc_u32_e32 v4, s16, v3
	v_mov_b32_e32 v30, s15
	s_add_i32 s16, s16, 1
	v_cmp_eq_u32_e64 s4, s16, v28
	buffer_load_ubyte v4, v4, s[0:3], 0 offen
	s_waitcnt vmcnt(0)
	v_and_b32_e32 v29, 0xffff, v4
	v_lshlrev_b64 v[29:30], s10, v[29:30]
	s_add_u32 s10, s10, 8
	s_addc_u32 s11, s11, 0
	s_or_b32 s13, s4, s13
	v_or_b32_e32 v27, v30, v27
	v_or_b32_e32 v26, v29, v26
	s_andn2_b32 exec_lo, exec_lo, s13
	s_cbranch_execnz .LBB4_66
; %bb.67:                               ;   in Loop: Header=BB4_31 Depth=1
	s_or_b32 exec_lo, exec_lo, s13
.LBB4_68:                               ;   in Loop: Header=BB4_31 Depth=1
	s_or_b32 exec_lo, exec_lo, s12
	v_mov_b32_e32 v4, v3
                                        ; implicit-def: $vgpr28
.LBB4_69:                               ;   in Loop: Header=BB4_31 Depth=1
	s_or_saveexec_b32 s4, s5
	v_mov_b32_e32 v16, 0
	s_xor_b32 exec_lo, exec_lo, s4
	s_cbranch_execz .LBB4_71
; %bb.70:                               ;   in Loop: Header=BB4_31 Depth=1
	s_clause 0x1
	buffer_load_dword v26, v3, s[0:3], 0 offen
	buffer_load_dword v27, v3, s[0:3], 0 offen offset:4
	v_add_nc_u32_e32 v16, -8, v28
.LBB4_71:                               ;   in Loop: Header=BB4_31 Depth=1
	s_or_b32 exec_lo, exec_lo, s4
	v_add_nc_u32_e32 v3, 8, v4
	s_mov_b32 s5, exec_lo
                                        ; implicit-def: $vgpr28_vgpr29
	v_cmpx_gt_u32_e32 8, v16
	s_xor_b32 s5, exec_lo, s5
	s_cbranch_execz .LBB4_77
; %bb.72:                               ;   in Loop: Header=BB4_31 Depth=1
	v_mov_b32_e32 v28, 0
	v_mov_b32_e32 v29, 0
	s_mov_b32 s12, exec_lo
	v_cmpx_ne_u32_e32 0, v16
	s_cbranch_execz .LBB4_76
; %bb.73:                               ;   in Loop: Header=BB4_31 Depth=1
	v_mov_b32_e32 v28, 0
	v_mov_b32_e32 v29, 0
	s_mov_b64 s[10:11], 0
	s_mov_b32 s13, 0
	s_mov_b32 s16, 0
	.p2align	6
.LBB4_74:                               ;   Parent Loop BB4_31 Depth=1
                                        ; =>  This Inner Loop Header: Depth=2
	v_add_nc_u32_e32 v3, s16, v4
	v_mov_b32_e32 v31, s15
	s_add_i32 s16, s16, 1
	v_cmp_eq_u32_e64 s4, s16, v16
	buffer_load_ubyte v3, v3, s[0:3], 0 offen
	s_waitcnt vmcnt(0)
	v_and_b32_e32 v30, 0xffff, v3
	v_lshlrev_b64 v[30:31], s10, v[30:31]
	s_add_u32 s10, s10, 8
	s_addc_u32 s11, s11, 0
	s_or_b32 s13, s4, s13
	v_or_b32_e32 v29, v31, v29
	v_or_b32_e32 v28, v30, v28
	s_andn2_b32 exec_lo, exec_lo, s13
	s_cbranch_execnz .LBB4_74
; %bb.75:                               ;   in Loop: Header=BB4_31 Depth=1
	s_or_b32 exec_lo, exec_lo, s13
.LBB4_76:                               ;   in Loop: Header=BB4_31 Depth=1
	s_or_b32 exec_lo, exec_lo, s12
	v_mov_b32_e32 v3, v4
                                        ; implicit-def: $vgpr16
.LBB4_77:                               ;   in Loop: Header=BB4_31 Depth=1
	s_or_saveexec_b32 s4, s5
	v_mov_b32_e32 v32, 0
	s_xor_b32 exec_lo, exec_lo, s4
	s_cbranch_execz .LBB4_79
; %bb.78:                               ;   in Loop: Header=BB4_31 Depth=1
	s_clause 0x1
	buffer_load_dword v28, v4, s[0:3], 0 offen
	buffer_load_dword v29, v4, s[0:3], 0 offen offset:4
	v_add_nc_u32_e32 v32, -8, v16
.LBB4_79:                               ;   in Loop: Header=BB4_31 Depth=1
	s_or_b32 exec_lo, exec_lo, s4
	s_mov_b32 s5, exec_lo
	v_cmpx_gt_u32_e32 8, v32
	s_xor_b32 s5, exec_lo, s5
	s_cbranch_execz .LBB4_85
; %bb.80:                               ;   in Loop: Header=BB4_31 Depth=1
	v_mov_b32_e32 v30, 0
	v_mov_b32_e32 v31, 0
	s_mov_b32 s12, exec_lo
	v_cmpx_ne_u32_e32 0, v32
	s_cbranch_execz .LBB4_84
; %bb.81:                               ;   in Loop: Header=BB4_31 Depth=1
	v_mov_b32_e32 v30, 0
	v_mov_b32_e32 v31, 0
	s_mov_b64 s[10:11], 0
	s_mov_b32 s13, 0
	.p2align	6
.LBB4_82:                               ;   Parent Loop BB4_31 Depth=1
                                        ; =>  This Inner Loop Header: Depth=2
	buffer_load_ubyte v4, v3, s[0:3], 0 offen
	v_mov_b32_e32 v34, s15
	v_add_nc_u32_e32 v32, -1, v32
	v_add_nc_u32_e32 v3, 1, v3
	v_cmp_eq_u32_e64 s4, 0, v32
	s_waitcnt vmcnt(0)
	v_and_b32_e32 v33, 0xffff, v4
	v_lshlrev_b64 v[33:34], s10, v[33:34]
	s_add_u32 s10, s10, 8
	s_addc_u32 s11, s11, 0
	s_or_b32 s13, s4, s13
	v_or_b32_e32 v31, v34, v31
	v_or_b32_e32 v30, v33, v30
	s_andn2_b32 exec_lo, exec_lo, s13
	s_cbranch_execnz .LBB4_82
; %bb.83:                               ;   in Loop: Header=BB4_31 Depth=1
	s_or_b32 exec_lo, exec_lo, s13
.LBB4_84:                               ;   in Loop: Header=BB4_31 Depth=1
	s_or_b32 exec_lo, exec_lo, s12
                                        ; implicit-def: $vgpr3
.LBB4_85:                               ;   in Loop: Header=BB4_31 Depth=1
	s_andn2_saveexec_b32 s4, s5
	s_cbranch_execz .LBB4_87
; %bb.86:                               ;   in Loop: Header=BB4_31 Depth=1
	s_clause 0x1
	buffer_load_dword v30, v3, s[0:3], 0 offen
	buffer_load_dword v31, v3, s[0:3], 0 offen offset:4
.LBB4_87:                               ;   in Loop: Header=BB4_31 Depth=1
	s_or_b32 exec_lo, exec_lo, s4
	v_readfirstlane_b32 s4, v36
	v_mov_b32_e32 v3, 0
	v_mov_b32_e32 v4, 0
	v_cmp_eq_u32_e64 s4, s4, v36
	s_and_saveexec_b32 s10, s4
	s_cbranch_execz .LBB4_93
; %bb.88:                               ;   in Loop: Header=BB4_31 Depth=1
	global_load_dwordx2 v[34:35], v17, s[6:7] offset:24 glc dlc
	s_waitcnt vmcnt(0)
	buffer_gl1_inv
	buffer_gl0_inv
	s_clause 0x1
	global_load_dwordx2 v[3:4], v17, s[6:7] offset:40
	global_load_dwordx2 v[32:33], v17, s[6:7]
	s_mov_b32 s11, exec_lo
	s_waitcnt vmcnt(1)
	v_and_b32_e32 v4, v4, v35
	v_and_b32_e32 v3, v3, v34
	v_mul_lo_u32 v4, v4, 24
	v_mul_hi_u32 v16, v3, 24
	v_mul_lo_u32 v3, v3, 24
	v_add_nc_u32_e32 v4, v16, v4
	s_waitcnt vmcnt(0)
	v_add_co_u32 v3, s5, v32, v3
	v_add_co_ci_u32_e64 v4, null, v33, v4, s5
	global_load_dwordx2 v[32:33], v[3:4], off glc dlc
	s_waitcnt vmcnt(0)
	global_atomic_cmpswap_x2 v[3:4], v17, v[32:35], s[6:7] offset:24 glc
	s_waitcnt vmcnt(0)
	buffer_gl1_inv
	buffer_gl0_inv
	v_cmpx_ne_u64_e64 v[3:4], v[34:35]
	s_cbranch_execz .LBB4_92
; %bb.89:                               ;   in Loop: Header=BB4_31 Depth=1
	s_mov_b32 s12, 0
	.p2align	6
.LBB4_90:                               ;   Parent Loop BB4_31 Depth=1
                                        ; =>  This Inner Loop Header: Depth=2
	s_sleep 1
	s_clause 0x1
	global_load_dwordx2 v[32:33], v17, s[6:7] offset:40
	global_load_dwordx2 v[48:49], v17, s[6:7]
	v_mov_b32_e32 v35, v4
	v_mov_b32_e32 v34, v3
	s_waitcnt vmcnt(1)
	v_and_b32_e32 v3, v32, v34
	v_and_b32_e32 v16, v33, v35
	s_waitcnt vmcnt(0)
	v_mad_u64_u32 v[3:4], null, v3, 24, v[48:49]
	v_mad_u64_u32 v[32:33], null, v16, 24, v[4:5]
	v_mov_b32_e32 v4, v32
	global_load_dwordx2 v[32:33], v[3:4], off glc dlc
	s_waitcnt vmcnt(0)
	global_atomic_cmpswap_x2 v[3:4], v17, v[32:35], s[6:7] offset:24 glc
	s_waitcnt vmcnt(0)
	buffer_gl1_inv
	buffer_gl0_inv
	v_cmp_eq_u64_e64 s5, v[3:4], v[34:35]
	s_or_b32 s12, s5, s12
	s_andn2_b32 exec_lo, exec_lo, s12
	s_cbranch_execnz .LBB4_90
; %bb.91:                               ;   in Loop: Header=BB4_31 Depth=1
	s_or_b32 exec_lo, exec_lo, s12
.LBB4_92:                               ;   in Loop: Header=BB4_31 Depth=1
	s_or_b32 exec_lo, exec_lo, s11
.LBB4_93:                               ;   in Loop: Header=BB4_31 Depth=1
	s_or_b32 exec_lo, exec_lo, s10
	s_clause 0x1
	global_load_dwordx2 v[48:49], v17, s[6:7] offset:40
	global_load_dwordx4 v[32:35], v17, s[6:7]
	v_readfirstlane_b32 s11, v4
	v_readfirstlane_b32 s10, v3
	s_mov_b32 s16, exec_lo
	s_waitcnt vmcnt(1)
	v_readfirstlane_b32 s12, v48
	v_readfirstlane_b32 s13, v49
	s_and_b64 s[12:13], s[12:13], s[10:11]
	s_mul_i32 s5, s13, 24
	s_mul_hi_u32 s17, s12, 24
	s_mul_i32 s18, s12, 24
	s_add_i32 s17, s17, s5
	s_waitcnt vmcnt(0)
	v_add_co_u32 v3, s5, v32, s18
	v_add_co_ci_u32_e64 v4, null, s17, v33, s5
	s_and_saveexec_b32 s5, s4
	s_cbranch_execz .LBB4_95
; %bb.94:                               ;   in Loop: Header=BB4_31 Depth=1
	v_mov_b32_e32 v16, s16
	global_store_dwordx4 v[3:4], v[16:19], off offset:8
.LBB4_95:                               ;   in Loop: Header=BB4_31 Depth=1
	s_or_b32 exec_lo, exec_lo, s5
	v_cmp_gt_u64_e64 s5, 57, v[0:1]
	v_and_b32_e32 v10, 0xffffff1f, v10
	s_lshl_b64 s[12:13], s[12:13], 12
	v_cndmask_b32_e64 v16, 0, v5, s5
	v_add_co_u32 v48, s5, v34, s12
	v_add_co_ci_u32_e64 v35, null, s13, v35, s5
	v_lshl_add_u32 v34, v39, 2, 28
	v_or_b32_e32 v10, v10, v16
	v_readfirstlane_b32 s12, v48
	v_readfirstlane_b32 s13, v35
	v_and_or_b32 v10, 0x1e0, v34, v10
	v_cndmask_b32_e32 v34, 0, v1, vcc_lo
	global_store_dwordx4 v37, v[20:23], s[12:13] offset:16
	global_store_dwordx4 v37, v[10:13], s[12:13]
	global_store_dwordx4 v37, v[24:27], s[12:13] offset:32
	global_store_dwordx4 v37, v[28:31], s[12:13] offset:48
	s_and_saveexec_b32 s5, s4
	s_cbranch_execz .LBB4_103
; %bb.96:                               ;   in Loop: Header=BB4_31 Depth=1
	s_clause 0x1
	global_load_dwordx2 v[24:25], v17, s[6:7] offset:32 glc dlc
	global_load_dwordx2 v[10:11], v17, s[6:7] offset:40
	v_mov_b32_e32 v22, s10
	v_mov_b32_e32 v23, s11
	s_waitcnt vmcnt(0)
	v_readfirstlane_b32 s12, v10
	v_readfirstlane_b32 s13, v11
	s_and_b64 s[12:13], s[12:13], s[10:11]
	s_mul_i32 s13, s13, 24
	s_mul_hi_u32 s16, s12, 24
	s_mul_i32 s12, s12, 24
	s_add_i32 s16, s16, s13
	v_add_co_u32 v20, vcc_lo, v32, s12
	v_add_co_ci_u32_e64 v21, null, s16, v33, vcc_lo
	s_mov_b32 s12, exec_lo
	global_store_dwordx2 v[20:21], v[24:25], off
	s_waitcnt_vscnt null, 0x0
	global_atomic_cmpswap_x2 v[12:13], v17, v[22:25], s[6:7] offset:32 glc
	s_waitcnt vmcnt(0)
	v_cmpx_ne_u64_e64 v[12:13], v[24:25]
	s_cbranch_execz .LBB4_99
; %bb.97:                               ;   in Loop: Header=BB4_31 Depth=1
	s_mov_b32 s13, 0
.LBB4_98:                               ;   Parent Loop BB4_31 Depth=1
                                        ; =>  This Inner Loop Header: Depth=2
	v_mov_b32_e32 v10, s10
	v_mov_b32_e32 v11, s11
	s_sleep 1
	global_store_dwordx2 v[20:21], v[12:13], off
	s_waitcnt_vscnt null, 0x0
	global_atomic_cmpswap_x2 v[10:11], v17, v[10:13], s[6:7] offset:32 glc
	s_waitcnt vmcnt(0)
	v_cmp_eq_u64_e32 vcc_lo, v[10:11], v[12:13]
	v_mov_b32_e32 v13, v11
	v_mov_b32_e32 v12, v10
	s_or_b32 s13, vcc_lo, s13
	s_andn2_b32 exec_lo, exec_lo, s13
	s_cbranch_execnz .LBB4_98
.LBB4_99:                               ;   in Loop: Header=BB4_31 Depth=1
	s_or_b32 exec_lo, exec_lo, s12
	global_load_dwordx2 v[10:11], v17, s[6:7] offset:16
	s_mov_b32 s13, exec_lo
	s_mov_b32 s12, exec_lo
	v_mbcnt_lo_u32_b32 v12, s13, 0
	v_cmpx_eq_u32_e32 0, v12
	s_cbranch_execz .LBB4_101
; %bb.100:                              ;   in Loop: Header=BB4_31 Depth=1
	s_bcnt1_i32_b32 s13, s13
	v_mov_b32_e32 v16, s13
	s_waitcnt vmcnt(0)
	global_atomic_add_x2 v[10:11], v[16:17], off offset:8
.LBB4_101:                              ;   in Loop: Header=BB4_31 Depth=1
	s_or_b32 exec_lo, exec_lo, s12
	s_waitcnt vmcnt(0)
	global_load_dwordx2 v[12:13], v[10:11], off offset:16
	s_waitcnt vmcnt(0)
	v_cmp_eq_u64_e32 vcc_lo, 0, v[12:13]
	s_cbranch_vccnz .LBB4_103
; %bb.102:                              ;   in Loop: Header=BB4_31 Depth=1
	global_load_dword v16, v[10:11], off offset:24
	s_waitcnt vmcnt(0)
	v_readfirstlane_b32 s12, v16
	s_waitcnt_vscnt null, 0x0
	global_store_dwordx2 v[12:13], v[16:17], off
	s_and_b32 m0, s12, 0x7fffff
	s_sendmsg sendmsg(MSG_INTERRUPT)
.LBB4_103:                              ;   in Loop: Header=BB4_31 Depth=1
	s_or_b32 exec_lo, exec_lo, s5
	v_add_co_u32 v10, vcc_lo, v48, v37
	v_add_co_ci_u32_e64 v11, null, 0, v35, vcc_lo
	s_branch .LBB4_107
	.p2align	6
.LBB4_104:                              ;   in Loop: Header=BB4_107 Depth=2
	s_or_b32 exec_lo, exec_lo, s5
	v_readfirstlane_b32 s5, v12
	s_cmp_eq_u32 s5, 0
	s_cbranch_scc1 .LBB4_106
; %bb.105:                              ;   in Loop: Header=BB4_107 Depth=2
	s_sleep 1
	s_cbranch_execnz .LBB4_107
	s_branch .LBB4_109
	.p2align	6
.LBB4_106:                              ;   in Loop: Header=BB4_31 Depth=1
	s_branch .LBB4_109
.LBB4_107:                              ;   Parent Loop BB4_31 Depth=1
                                        ; =>  This Inner Loop Header: Depth=2
	v_mov_b32_e32 v12, 1
	s_and_saveexec_b32 s5, s4
	s_cbranch_execz .LBB4_104
; %bb.108:                              ;   in Loop: Header=BB4_107 Depth=2
	global_load_dword v12, v[3:4], off offset:20 glc dlc
	s_waitcnt vmcnt(0)
	buffer_gl1_inv
	buffer_gl0_inv
	v_and_b32_e32 v12, 1, v12
	s_branch .LBB4_104
.LBB4_109:                              ;   in Loop: Header=BB4_31 Depth=1
	global_load_dwordx2 v[10:11], v[10:11], off
	s_and_saveexec_b32 s12, s4
	s_cbranch_execz .LBB4_30
; %bb.110:                              ;   in Loop: Header=BB4_31 Depth=1
	s_clause 0x2
	global_load_dwordx2 v[3:4], v17, s[6:7] offset:40
	global_load_dwordx2 v[24:25], v17, s[6:7] offset:24 glc dlc
	global_load_dwordx2 v[12:13], v17, s[6:7]
	s_waitcnt vmcnt(2)
	v_readfirstlane_b32 s16, v3
	v_readfirstlane_b32 s17, v4
	s_add_u32 s13, s16, 1
	s_addc_u32 s18, s17, 0
	s_add_u32 s4, s13, s10
	s_addc_u32 s5, s18, s11
	s_cmp_eq_u64 s[4:5], 0
	s_cselect_b32 s5, s18, s5
	s_cselect_b32 s4, s13, s4
	v_mov_b32_e32 v23, s5
	s_and_b64 s[10:11], s[4:5], s[16:17]
	v_mov_b32_e32 v22, s4
	s_mul_i32 s11, s11, 24
	s_mul_hi_u32 s13, s10, 24
	s_mul_i32 s10, s10, 24
	s_add_i32 s13, s13, s11
	s_waitcnt vmcnt(0)
	v_add_co_u32 v3, vcc_lo, v12, s10
	v_add_co_ci_u32_e64 v4, null, s13, v13, vcc_lo
	global_store_dwordx2 v[3:4], v[24:25], off
	s_waitcnt_vscnt null, 0x0
	global_atomic_cmpswap_x2 v[22:23], v17, v[22:25], s[6:7] offset:24 glc
	s_waitcnt vmcnt(0)
	v_cmp_ne_u64_e32 vcc_lo, v[22:23], v[24:25]
	s_and_b32 exec_lo, exec_lo, vcc_lo
	s_cbranch_execz .LBB4_30
; %bb.111:                              ;   in Loop: Header=BB4_31 Depth=1
	s_mov_b32 s10, 0
.LBB4_112:                              ;   Parent Loop BB4_31 Depth=1
                                        ; =>  This Inner Loop Header: Depth=2
	v_mov_b32_e32 v20, s4
	v_mov_b32_e32 v21, s5
	s_sleep 1
	global_store_dwordx2 v[3:4], v[22:23], off
	s_waitcnt_vscnt null, 0x0
	global_atomic_cmpswap_x2 v[12:13], v17, v[20:23], s[6:7] offset:24 glc
	s_waitcnt vmcnt(0)
	v_cmp_eq_u64_e32 vcc_lo, v[12:13], v[22:23]
	v_mov_b32_e32 v23, v13
	v_mov_b32_e32 v22, v12
	s_or_b32 s10, vcc_lo, s10
	s_andn2_b32 exec_lo, exec_lo, s10
	s_cbranch_execnz .LBB4_112
	s_branch .LBB4_30
.LBB4_113:
                                        ; implicit-def: $vgpr10_vgpr11
	s_cbranch_execnz .LBB4_115
	s_branch .LBB4_142
.LBB4_114:
	s_or_b32 exec_lo, exec_lo, s14
	s_branch .LBB4_142
.LBB4_115:
	v_readfirstlane_b32 s4, v36
	v_mov_b32_e32 v0, 0
	v_mov_b32_e32 v1, 0
	v_cmp_eq_u32_e64 s4, s4, v36
	s_and_saveexec_b32 s5, s4
	s_cbranch_execz .LBB4_121
; %bb.116:
	v_mov_b32_e32 v3, 0
	s_mov_b32 s10, exec_lo
	global_load_dwordx2 v[12:13], v3, s[6:7] offset:24 glc dlc
	s_waitcnt vmcnt(0)
	buffer_gl1_inv
	buffer_gl0_inv
	s_clause 0x1
	global_load_dwordx2 v[0:1], v3, s[6:7] offset:40
	global_load_dwordx2 v[4:5], v3, s[6:7]
	s_waitcnt vmcnt(1)
	v_and_b32_e32 v1, v1, v13
	v_and_b32_e32 v0, v0, v12
	v_mul_lo_u32 v1, v1, 24
	v_mul_hi_u32 v10, v0, 24
	v_mul_lo_u32 v0, v0, 24
	v_add_nc_u32_e32 v1, v10, v1
	s_waitcnt vmcnt(0)
	v_add_co_u32 v0, vcc_lo, v4, v0
	v_add_co_ci_u32_e64 v1, null, v5, v1, vcc_lo
	global_load_dwordx2 v[10:11], v[0:1], off glc dlc
	s_waitcnt vmcnt(0)
	global_atomic_cmpswap_x2 v[0:1], v3, v[10:13], s[6:7] offset:24 glc
	s_waitcnt vmcnt(0)
	buffer_gl1_inv
	buffer_gl0_inv
	v_cmpx_ne_u64_e64 v[0:1], v[12:13]
	s_cbranch_execz .LBB4_120
; %bb.117:
	s_mov_b32 s11, 0
	.p2align	6
.LBB4_118:                              ; =>This Inner Loop Header: Depth=1
	s_sleep 1
	s_clause 0x1
	global_load_dwordx2 v[4:5], v3, s[6:7] offset:40
	global_load_dwordx2 v[10:11], v3, s[6:7]
	v_mov_b32_e32 v13, v1
	v_mov_b32_e32 v12, v0
	s_waitcnt vmcnt(1)
	v_and_b32_e32 v0, v4, v12
	v_and_b32_e32 v4, v5, v13
	s_waitcnt vmcnt(0)
	v_mad_u64_u32 v[0:1], null, v0, 24, v[10:11]
	v_mad_u64_u32 v[4:5], null, v4, 24, v[1:2]
	v_mov_b32_e32 v1, v4
	global_load_dwordx2 v[10:11], v[0:1], off glc dlc
	s_waitcnt vmcnt(0)
	global_atomic_cmpswap_x2 v[0:1], v3, v[10:13], s[6:7] offset:24 glc
	s_waitcnt vmcnt(0)
	buffer_gl1_inv
	buffer_gl0_inv
	v_cmp_eq_u64_e32 vcc_lo, v[0:1], v[12:13]
	s_or_b32 s11, vcc_lo, s11
	s_andn2_b32 exec_lo, exec_lo, s11
	s_cbranch_execnz .LBB4_118
; %bb.119:
	s_or_b32 exec_lo, exec_lo, s11
.LBB4_120:
	s_or_b32 exec_lo, exec_lo, s10
.LBB4_121:
	s_or_b32 exec_lo, exec_lo, s5
	v_mov_b32_e32 v16, 0
	v_readfirstlane_b32 s11, v1
	v_readfirstlane_b32 s10, v0
	s_mov_b32 s5, exec_lo
	s_clause 0x1
	global_load_dwordx2 v[3:4], v16, s[6:7] offset:40
	global_load_dwordx4 v[10:13], v16, s[6:7]
	s_waitcnt vmcnt(1)
	v_readfirstlane_b32 s12, v3
	v_readfirstlane_b32 s13, v4
	s_and_b64 s[12:13], s[12:13], s[10:11]
	s_mul_i32 s14, s13, 24
	s_mul_hi_u32 s15, s12, 24
	s_mul_i32 s16, s12, 24
	s_add_i32 s15, s15, s14
	s_waitcnt vmcnt(0)
	v_add_co_u32 v0, vcc_lo, v10, s16
	v_add_co_ci_u32_e64 v1, null, s15, v11, vcc_lo
	s_and_saveexec_b32 s14, s4
	s_cbranch_execz .LBB4_123
; %bb.122:
	v_mov_b32_e32 v17, s5
	v_mov_b32_e32 v18, v16
	;; [unrolled: 1-line block ×4, first 2 shown]
	global_store_dwordx4 v[0:1], v[17:20], off offset:8
.LBB4_123:
	s_or_b32 exec_lo, exec_lo, s14
	s_lshl_b64 s[12:13], s[12:13], 12
	v_and_or_b32 v14, 0xffffff1f, v14, 32
	v_add_co_u32 v3, vcc_lo, v12, s12
	v_add_co_ci_u32_e64 v4, null, s13, v13, vcc_lo
	s_mov_b32 s12, 0
	v_readfirstlane_b32 s16, v3
	s_mov_b32 s15, s12
	v_add_co_u32 v3, vcc_lo, v3, v37
	s_mov_b32 s13, s12
	s_mov_b32 s14, s12
	v_mov_b32_e32 v17, v16
	v_readfirstlane_b32 s17, v4
	v_mov_b32_e32 v21, s15
	v_add_co_ci_u32_e64 v4, null, 0, v4, vcc_lo
	v_mov_b32_e32 v20, s14
	v_mov_b32_e32 v19, s13
	;; [unrolled: 1-line block ×3, first 2 shown]
	global_store_dwordx4 v37, v[14:17], s[16:17]
	global_store_dwordx4 v37, v[18:21], s[16:17] offset:16
	global_store_dwordx4 v37, v[18:21], s[16:17] offset:32
	;; [unrolled: 1-line block ×3, first 2 shown]
	s_and_saveexec_b32 s5, s4
	s_cbranch_execz .LBB4_131
; %bb.124:
	v_mov_b32_e32 v5, 0
	v_mov_b32_e32 v16, s10
	;; [unrolled: 1-line block ×3, first 2 shown]
	s_clause 0x1
	global_load_dwordx2 v[18:19], v5, s[6:7] offset:32 glc dlc
	global_load_dwordx2 v[12:13], v5, s[6:7] offset:40
	s_waitcnt vmcnt(0)
	v_readfirstlane_b32 s12, v12
	v_readfirstlane_b32 s13, v13
	s_and_b64 s[12:13], s[12:13], s[10:11]
	s_mul_i32 s13, s13, 24
	s_mul_hi_u32 s14, s12, 24
	s_mul_i32 s12, s12, 24
	s_add_i32 s14, s14, s13
	v_add_co_u32 v14, vcc_lo, v10, s12
	v_add_co_ci_u32_e64 v15, null, s14, v11, vcc_lo
	s_mov_b32 s12, exec_lo
	global_store_dwordx2 v[14:15], v[18:19], off
	s_waitcnt_vscnt null, 0x0
	global_atomic_cmpswap_x2 v[12:13], v5, v[16:19], s[6:7] offset:32 glc
	s_waitcnt vmcnt(0)
	v_cmpx_ne_u64_e64 v[12:13], v[18:19]
	s_cbranch_execz .LBB4_127
; %bb.125:
	s_mov_b32 s13, 0
.LBB4_126:                              ; =>This Inner Loop Header: Depth=1
	v_mov_b32_e32 v10, s10
	v_mov_b32_e32 v11, s11
	s_sleep 1
	global_store_dwordx2 v[14:15], v[12:13], off
	s_waitcnt_vscnt null, 0x0
	global_atomic_cmpswap_x2 v[10:11], v5, v[10:13], s[6:7] offset:32 glc
	s_waitcnt vmcnt(0)
	v_cmp_eq_u64_e32 vcc_lo, v[10:11], v[12:13]
	v_mov_b32_e32 v13, v11
	v_mov_b32_e32 v12, v10
	s_or_b32 s13, vcc_lo, s13
	s_andn2_b32 exec_lo, exec_lo, s13
	s_cbranch_execnz .LBB4_126
.LBB4_127:
	s_or_b32 exec_lo, exec_lo, s12
	v_mov_b32_e32 v13, 0
	s_mov_b32 s13, exec_lo
	s_mov_b32 s12, exec_lo
	v_mbcnt_lo_u32_b32 v5, s13, 0
	global_load_dwordx2 v[10:11], v13, s[6:7] offset:16
	v_cmpx_eq_u32_e32 0, v5
	s_cbranch_execz .LBB4_129
; %bb.128:
	s_bcnt1_i32_b32 s13, s13
	v_mov_b32_e32 v12, s13
	s_waitcnt vmcnt(0)
	global_atomic_add_x2 v[10:11], v[12:13], off offset:8
.LBB4_129:
	s_or_b32 exec_lo, exec_lo, s12
	s_waitcnt vmcnt(0)
	global_load_dwordx2 v[12:13], v[10:11], off offset:16
	s_waitcnt vmcnt(0)
	v_cmp_eq_u64_e32 vcc_lo, 0, v[12:13]
	s_cbranch_vccnz .LBB4_131
; %bb.130:
	global_load_dword v10, v[10:11], off offset:24
	v_mov_b32_e32 v11, 0
	s_waitcnt vmcnt(0)
	v_readfirstlane_b32 s12, v10
	s_waitcnt_vscnt null, 0x0
	global_store_dwordx2 v[12:13], v[10:11], off
	s_and_b32 m0, s12, 0x7fffff
	s_sendmsg sendmsg(MSG_INTERRUPT)
.LBB4_131:
	s_or_b32 exec_lo, exec_lo, s5
	s_branch .LBB4_135
	.p2align	6
.LBB4_132:                              ;   in Loop: Header=BB4_135 Depth=1
	s_or_b32 exec_lo, exec_lo, s5
	v_readfirstlane_b32 s5, v5
	s_cmp_eq_u32 s5, 0
	s_cbranch_scc1 .LBB4_134
; %bb.133:                              ;   in Loop: Header=BB4_135 Depth=1
	s_sleep 1
	s_cbranch_execnz .LBB4_135
	s_branch .LBB4_137
	.p2align	6
.LBB4_134:
	s_branch .LBB4_137
.LBB4_135:                              ; =>This Inner Loop Header: Depth=1
	v_mov_b32_e32 v5, 1
	s_and_saveexec_b32 s5, s4
	s_cbranch_execz .LBB4_132
; %bb.136:                              ;   in Loop: Header=BB4_135 Depth=1
	global_load_dword v5, v[0:1], off offset:20 glc dlc
	s_waitcnt vmcnt(0)
	buffer_gl1_inv
	buffer_gl0_inv
	v_and_b32_e32 v5, 1, v5
	s_branch .LBB4_132
.LBB4_137:
	global_load_dwordx2 v[10:11], v[3:4], off
	s_and_saveexec_b32 s12, s4
	s_cbranch_execz .LBB4_141
; %bb.138:
	v_mov_b32_e32 v3, 0
	s_clause 0x2
	global_load_dwordx2 v[0:1], v3, s[6:7] offset:40
	global_load_dwordx2 v[16:17], v3, s[6:7] offset:24 glc dlc
	global_load_dwordx2 v[4:5], v3, s[6:7]
	s_waitcnt vmcnt(2)
	v_readfirstlane_b32 s14, v0
	v_readfirstlane_b32 s15, v1
	s_add_u32 s13, s14, 1
	s_addc_u32 s16, s15, 0
	s_add_u32 s4, s13, s10
	s_addc_u32 s5, s16, s11
	s_cmp_eq_u64 s[4:5], 0
	s_cselect_b32 s5, s16, s5
	s_cselect_b32 s4, s13, s4
	v_mov_b32_e32 v15, s5
	s_and_b64 s[10:11], s[4:5], s[14:15]
	v_mov_b32_e32 v14, s4
	s_mul_i32 s11, s11, 24
	s_mul_hi_u32 s13, s10, 24
	s_mul_i32 s10, s10, 24
	s_add_i32 s13, s13, s11
	s_waitcnt vmcnt(0)
	v_add_co_u32 v0, vcc_lo, v4, s10
	v_add_co_ci_u32_e64 v1, null, s13, v5, vcc_lo
	global_store_dwordx2 v[0:1], v[16:17], off
	s_waitcnt_vscnt null, 0x0
	global_atomic_cmpswap_x2 v[14:15], v3, v[14:17], s[6:7] offset:24 glc
	s_waitcnt vmcnt(0)
	v_cmp_ne_u64_e32 vcc_lo, v[14:15], v[16:17]
	s_and_b32 exec_lo, exec_lo, vcc_lo
	s_cbranch_execz .LBB4_141
; %bb.139:
	s_mov_b32 s10, 0
.LBB4_140:                              ; =>This Inner Loop Header: Depth=1
	v_mov_b32_e32 v12, s4
	v_mov_b32_e32 v13, s5
	s_sleep 1
	global_store_dwordx2 v[0:1], v[14:15], off
	s_waitcnt_vscnt null, 0x0
	global_atomic_cmpswap_x2 v[4:5], v3, v[12:15], s[6:7] offset:24 glc
	s_waitcnt vmcnt(0)
	v_cmp_eq_u64_e32 vcc_lo, v[4:5], v[14:15]
	v_mov_b32_e32 v15, v5
	v_mov_b32_e32 v14, v4
	s_or_b32 s10, vcc_lo, s10
	s_andn2_b32 exec_lo, exec_lo, s10
	s_cbranch_execnz .LBB4_140
.LBB4_141:
	s_or_b32 exec_lo, exec_lo, s12
.LBB4_142:
	s_getpc_b64 s[10:11]
	s_add_u32 s10, s10, .str.1@rel32@lo+4
	s_addc_u32 s11, s11, .str.1@rel32@hi+12
	s_cmp_lg_u64 s[10:11], 0
	s_cbranch_scc0 .LBB4_220
; %bb.143:
	s_getpc_b64 s[4:5]
	s_add_u32 s4, s4, .str.1@rel32@lo+88
	s_addc_u32 s5, s5, .str.1@rel32@hi+96
	s_waitcnt vmcnt(0)
	v_and_b32_e32 v5, 2, v10
	v_mov_b32_e32 v17, 0
	v_and_b32_e32 v12, -3, v10
	v_mov_b32_e32 v13, v11
	v_mov_b32_e32 v18, 2
	;; [unrolled: 1-line block ×3, first 2 shown]
	s_sub_i32 s12, s4, s10
	s_ashr_i32 s13, s12, 31
	s_branch .LBB4_145
.LBB4_144:                              ;   in Loop: Header=BB4_145 Depth=1
	s_or_b32 exec_lo, exec_lo, s18
	s_sub_u32 s12, s12, s14
	s_subb_u32 s13, s13, s15
	s_add_u32 s10, s10, s14
	s_addc_u32 s11, s11, s15
	s_cmp_lg_u64 s[12:13], 0
	s_cbranch_scc0 .LBB4_221
.LBB4_145:                              ; =>This Loop Header: Depth=1
                                        ;     Child Loop BB4_148 Depth 2
                                        ;     Child Loop BB4_155 Depth 2
	;; [unrolled: 1-line block ×11, first 2 shown]
	v_cmp_lt_u64_e64 s4, s[12:13], 56
	v_cmp_gt_u64_e64 s16, s[12:13], 7
	s_and_b32 s4, s4, exec_lo
	s_cselect_b32 s15, s13, 0
	s_cselect_b32 s14, s12, 56
	s_add_u32 s4, s10, 8
	s_addc_u32 s5, s11, 0
	s_and_b32 vcc_lo, exec_lo, s16
	s_cbranch_vccnz .LBB4_150
; %bb.146:                              ;   in Loop: Header=BB4_145 Depth=1
	v_mov_b32_e32 v14, 0
	v_mov_b32_e32 v15, 0
	s_cmp_eq_u64 s[12:13], 0
	s_cbranch_scc1 .LBB4_149
; %bb.147:                              ;   in Loop: Header=BB4_145 Depth=1
	s_lshl_b64 s[4:5], s[14:15], 3
	s_mov_b64 s[16:17], 0
	s_mov_b64 s[18:19], s[10:11]
.LBB4_148:                              ;   Parent Loop BB4_145 Depth=1
                                        ; =>  This Inner Loop Header: Depth=2
	global_load_ubyte v0, v17, s[18:19]
	s_waitcnt vmcnt(0)
	v_and_b32_e32 v16, 0xffff, v0
	v_lshlrev_b64 v[0:1], s16, v[16:17]
	s_add_u32 s16, s16, 8
	s_addc_u32 s17, s17, 0
	s_add_u32 s18, s18, 1
	s_addc_u32 s19, s19, 0
	s_cmp_lg_u32 s4, s16
	v_or_b32_e32 v14, v0, v14
	v_or_b32_e32 v15, v1, v15
	s_cbranch_scc1 .LBB4_148
.LBB4_149:                              ;   in Loop: Header=BB4_145 Depth=1
	s_mov_b64 s[4:5], s[10:11]
	s_mov_b32 s20, 0
	s_cbranch_execz .LBB4_151
	s_branch .LBB4_152
.LBB4_150:                              ;   in Loop: Header=BB4_145 Depth=1
	s_mov_b32 s20, 0
.LBB4_151:                              ;   in Loop: Header=BB4_145 Depth=1
	global_load_dwordx2 v[14:15], v17, s[10:11]
	s_add_i32 s20, s14, -8
.LBB4_152:                              ;   in Loop: Header=BB4_145 Depth=1
	s_add_u32 s16, s4, 8
	s_addc_u32 s17, s5, 0
	s_cmp_gt_u32 s20, 7
	s_cbranch_scc1 .LBB4_157
; %bb.153:                              ;   in Loop: Header=BB4_145 Depth=1
	v_mov_b32_e32 v20, 0
	v_mov_b32_e32 v21, 0
	s_cmp_eq_u32 s20, 0
	s_cbranch_scc1 .LBB4_156
; %bb.154:                              ;   in Loop: Header=BB4_145 Depth=1
	s_mov_b64 s[16:17], 0
	s_mov_b64 s[18:19], 0
.LBB4_155:                              ;   Parent Loop BB4_145 Depth=1
                                        ; =>  This Inner Loop Header: Depth=2
	s_add_u32 s22, s4, s18
	s_addc_u32 s23, s5, s19
	s_add_u32 s18, s18, 1
	global_load_ubyte v0, v17, s[22:23]
	s_addc_u32 s19, s19, 0
	s_waitcnt vmcnt(0)
	v_and_b32_e32 v16, 0xffff, v0
	v_lshlrev_b64 v[0:1], s16, v[16:17]
	s_add_u32 s16, s16, 8
	s_addc_u32 s17, s17, 0
	s_cmp_lg_u32 s20, s18
	v_or_b32_e32 v20, v0, v20
	v_or_b32_e32 v21, v1, v21
	s_cbranch_scc1 .LBB4_155
.LBB4_156:                              ;   in Loop: Header=BB4_145 Depth=1
	s_mov_b64 s[16:17], s[4:5]
	s_mov_b32 s21, 0
	s_cbranch_execz .LBB4_158
	s_branch .LBB4_159
.LBB4_157:                              ;   in Loop: Header=BB4_145 Depth=1
                                        ; implicit-def: $vgpr20_vgpr21
	s_mov_b32 s21, 0
.LBB4_158:                              ;   in Loop: Header=BB4_145 Depth=1
	global_load_dwordx2 v[20:21], v17, s[4:5]
	s_add_i32 s21, s20, -8
.LBB4_159:                              ;   in Loop: Header=BB4_145 Depth=1
	s_add_u32 s4, s16, 8
	s_addc_u32 s5, s17, 0
	s_cmp_gt_u32 s21, 7
	s_cbranch_scc1 .LBB4_164
; %bb.160:                              ;   in Loop: Header=BB4_145 Depth=1
	v_mov_b32_e32 v22, 0
	v_mov_b32_e32 v23, 0
	s_cmp_eq_u32 s21, 0
	s_cbranch_scc1 .LBB4_163
; %bb.161:                              ;   in Loop: Header=BB4_145 Depth=1
	s_mov_b64 s[4:5], 0
	s_mov_b64 s[18:19], 0
.LBB4_162:                              ;   Parent Loop BB4_145 Depth=1
                                        ; =>  This Inner Loop Header: Depth=2
	s_add_u32 s22, s16, s18
	s_addc_u32 s23, s17, s19
	s_add_u32 s18, s18, 1
	global_load_ubyte v0, v17, s[22:23]
	s_addc_u32 s19, s19, 0
	s_waitcnt vmcnt(0)
	v_and_b32_e32 v16, 0xffff, v0
	v_lshlrev_b64 v[0:1], s4, v[16:17]
	s_add_u32 s4, s4, 8
	s_addc_u32 s5, s5, 0
	s_cmp_lg_u32 s21, s18
	v_or_b32_e32 v22, v0, v22
	v_or_b32_e32 v23, v1, v23
	s_cbranch_scc1 .LBB4_162
.LBB4_163:                              ;   in Loop: Header=BB4_145 Depth=1
	s_mov_b64 s[4:5], s[16:17]
	s_mov_b32 s20, 0
	s_cbranch_execz .LBB4_165
	s_branch .LBB4_166
.LBB4_164:                              ;   in Loop: Header=BB4_145 Depth=1
	s_mov_b32 s20, 0
.LBB4_165:                              ;   in Loop: Header=BB4_145 Depth=1
	global_load_dwordx2 v[22:23], v17, s[16:17]
	s_add_i32 s20, s21, -8
.LBB4_166:                              ;   in Loop: Header=BB4_145 Depth=1
	s_add_u32 s16, s4, 8
	s_addc_u32 s17, s5, 0
	s_cmp_gt_u32 s20, 7
	s_cbranch_scc1 .LBB4_171
; %bb.167:                              ;   in Loop: Header=BB4_145 Depth=1
	v_mov_b32_e32 v24, 0
	v_mov_b32_e32 v25, 0
	s_cmp_eq_u32 s20, 0
	s_cbranch_scc1 .LBB4_170
; %bb.168:                              ;   in Loop: Header=BB4_145 Depth=1
	s_mov_b64 s[16:17], 0
	s_mov_b64 s[18:19], 0
.LBB4_169:                              ;   Parent Loop BB4_145 Depth=1
                                        ; =>  This Inner Loop Header: Depth=2
	s_add_u32 s22, s4, s18
	s_addc_u32 s23, s5, s19
	s_add_u32 s18, s18, 1
	global_load_ubyte v0, v17, s[22:23]
	s_addc_u32 s19, s19, 0
	s_waitcnt vmcnt(0)
	v_and_b32_e32 v16, 0xffff, v0
	v_lshlrev_b64 v[0:1], s16, v[16:17]
	s_add_u32 s16, s16, 8
	s_addc_u32 s17, s17, 0
	s_cmp_lg_u32 s20, s18
	v_or_b32_e32 v24, v0, v24
	v_or_b32_e32 v25, v1, v25
	s_cbranch_scc1 .LBB4_169
.LBB4_170:                              ;   in Loop: Header=BB4_145 Depth=1
	s_mov_b64 s[16:17], s[4:5]
	s_mov_b32 s21, 0
	s_cbranch_execz .LBB4_172
	s_branch .LBB4_173
.LBB4_171:                              ;   in Loop: Header=BB4_145 Depth=1
                                        ; implicit-def: $vgpr24_vgpr25
	s_mov_b32 s21, 0
.LBB4_172:                              ;   in Loop: Header=BB4_145 Depth=1
	global_load_dwordx2 v[24:25], v17, s[4:5]
	s_add_i32 s21, s20, -8
.LBB4_173:                              ;   in Loop: Header=BB4_145 Depth=1
	s_add_u32 s4, s16, 8
	s_addc_u32 s5, s17, 0
	s_cmp_gt_u32 s21, 7
	s_cbranch_scc1 .LBB4_178
; %bb.174:                              ;   in Loop: Header=BB4_145 Depth=1
	v_mov_b32_e32 v26, 0
	v_mov_b32_e32 v27, 0
	s_cmp_eq_u32 s21, 0
	s_cbranch_scc1 .LBB4_177
; %bb.175:                              ;   in Loop: Header=BB4_145 Depth=1
	s_mov_b64 s[4:5], 0
	s_mov_b64 s[18:19], 0
.LBB4_176:                              ;   Parent Loop BB4_145 Depth=1
                                        ; =>  This Inner Loop Header: Depth=2
	s_add_u32 s22, s16, s18
	s_addc_u32 s23, s17, s19
	s_add_u32 s18, s18, 1
	global_load_ubyte v0, v17, s[22:23]
	s_addc_u32 s19, s19, 0
	s_waitcnt vmcnt(0)
	v_and_b32_e32 v16, 0xffff, v0
	v_lshlrev_b64 v[0:1], s4, v[16:17]
	s_add_u32 s4, s4, 8
	s_addc_u32 s5, s5, 0
	s_cmp_lg_u32 s21, s18
	v_or_b32_e32 v26, v0, v26
	v_or_b32_e32 v27, v1, v27
	s_cbranch_scc1 .LBB4_176
.LBB4_177:                              ;   in Loop: Header=BB4_145 Depth=1
	s_mov_b64 s[4:5], s[16:17]
	s_mov_b32 s20, 0
	s_cbranch_execz .LBB4_179
	s_branch .LBB4_180
.LBB4_178:                              ;   in Loop: Header=BB4_145 Depth=1
	s_mov_b32 s20, 0
.LBB4_179:                              ;   in Loop: Header=BB4_145 Depth=1
	global_load_dwordx2 v[26:27], v17, s[16:17]
	s_add_i32 s20, s21, -8
.LBB4_180:                              ;   in Loop: Header=BB4_145 Depth=1
	s_add_u32 s16, s4, 8
	s_addc_u32 s17, s5, 0
	s_cmp_gt_u32 s20, 7
	s_cbranch_scc1 .LBB4_185
; %bb.181:                              ;   in Loop: Header=BB4_145 Depth=1
	v_mov_b32_e32 v28, 0
	v_mov_b32_e32 v29, 0
	s_cmp_eq_u32 s20, 0
	s_cbranch_scc1 .LBB4_184
; %bb.182:                              ;   in Loop: Header=BB4_145 Depth=1
	s_mov_b64 s[16:17], 0
	s_mov_b64 s[18:19], 0
.LBB4_183:                              ;   Parent Loop BB4_145 Depth=1
                                        ; =>  This Inner Loop Header: Depth=2
	s_add_u32 s22, s4, s18
	s_addc_u32 s23, s5, s19
	s_add_u32 s18, s18, 1
	global_load_ubyte v0, v17, s[22:23]
	s_addc_u32 s19, s19, 0
	s_waitcnt vmcnt(0)
	v_and_b32_e32 v16, 0xffff, v0
	v_lshlrev_b64 v[0:1], s16, v[16:17]
	s_add_u32 s16, s16, 8
	s_addc_u32 s17, s17, 0
	s_cmp_lg_u32 s20, s18
	v_or_b32_e32 v28, v0, v28
	v_or_b32_e32 v29, v1, v29
	s_cbranch_scc1 .LBB4_183
.LBB4_184:                              ;   in Loop: Header=BB4_145 Depth=1
	s_mov_b64 s[16:17], s[4:5]
	s_mov_b32 s21, 0
	s_cbranch_execz .LBB4_186
	s_branch .LBB4_187
.LBB4_185:                              ;   in Loop: Header=BB4_145 Depth=1
                                        ; implicit-def: $vgpr28_vgpr29
	s_mov_b32 s21, 0
.LBB4_186:                              ;   in Loop: Header=BB4_145 Depth=1
	global_load_dwordx2 v[28:29], v17, s[4:5]
	s_add_i32 s21, s20, -8
.LBB4_187:                              ;   in Loop: Header=BB4_145 Depth=1
	s_cmp_gt_u32 s21, 7
	s_cbranch_scc1 .LBB4_192
; %bb.188:                              ;   in Loop: Header=BB4_145 Depth=1
	v_mov_b32_e32 v30, 0
	v_mov_b32_e32 v31, 0
	s_cmp_eq_u32 s21, 0
	s_cbranch_scc1 .LBB4_191
; %bb.189:                              ;   in Loop: Header=BB4_145 Depth=1
	s_mov_b64 s[4:5], 0
	s_mov_b64 s[18:19], s[16:17]
.LBB4_190:                              ;   Parent Loop BB4_145 Depth=1
                                        ; =>  This Inner Loop Header: Depth=2
	global_load_ubyte v0, v17, s[18:19]
	s_add_i32 s21, s21, -1
	s_waitcnt vmcnt(0)
	v_and_b32_e32 v16, 0xffff, v0
	v_lshlrev_b64 v[0:1], s4, v[16:17]
	s_add_u32 s4, s4, 8
	s_addc_u32 s5, s5, 0
	s_add_u32 s18, s18, 1
	s_addc_u32 s19, s19, 0
	s_cmp_lg_u32 s21, 0
	v_or_b32_e32 v30, v0, v30
	v_or_b32_e32 v31, v1, v31
	s_cbranch_scc1 .LBB4_190
.LBB4_191:                              ;   in Loop: Header=BB4_145 Depth=1
	s_cbranch_execz .LBB4_193
	s_branch .LBB4_194
.LBB4_192:                              ;   in Loop: Header=BB4_145 Depth=1
.LBB4_193:                              ;   in Loop: Header=BB4_145 Depth=1
	global_load_dwordx2 v[30:31], v17, s[16:17]
.LBB4_194:                              ;   in Loop: Header=BB4_145 Depth=1
	v_readfirstlane_b32 s4, v36
	v_mov_b32_e32 v0, 0
	v_mov_b32_e32 v1, 0
	v_cmp_eq_u32_e64 s4, s4, v36
	s_and_saveexec_b32 s5, s4
	s_cbranch_execz .LBB4_200
; %bb.195:                              ;   in Loop: Header=BB4_145 Depth=1
	global_load_dwordx2 v[34:35], v17, s[6:7] offset:24 glc dlc
	s_waitcnt vmcnt(0)
	buffer_gl1_inv
	buffer_gl0_inv
	s_clause 0x1
	global_load_dwordx2 v[0:1], v17, s[6:7] offset:40
	global_load_dwordx2 v[3:4], v17, s[6:7]
	s_mov_b32 s16, exec_lo
	s_waitcnt vmcnt(1)
	v_and_b32_e32 v1, v1, v35
	v_and_b32_e32 v0, v0, v34
	v_mul_lo_u32 v1, v1, 24
	v_mul_hi_u32 v16, v0, 24
	v_mul_lo_u32 v0, v0, 24
	v_add_nc_u32_e32 v1, v16, v1
	s_waitcnt vmcnt(0)
	v_add_co_u32 v0, vcc_lo, v3, v0
	v_add_co_ci_u32_e64 v1, null, v4, v1, vcc_lo
	global_load_dwordx2 v[32:33], v[0:1], off glc dlc
	s_waitcnt vmcnt(0)
	global_atomic_cmpswap_x2 v[0:1], v17, v[32:35], s[6:7] offset:24 glc
	s_waitcnt vmcnt(0)
	buffer_gl1_inv
	buffer_gl0_inv
	v_cmpx_ne_u64_e64 v[0:1], v[34:35]
	s_cbranch_execz .LBB4_199
; %bb.196:                              ;   in Loop: Header=BB4_145 Depth=1
	s_mov_b32 s17, 0
	.p2align	6
.LBB4_197:                              ;   Parent Loop BB4_145 Depth=1
                                        ; =>  This Inner Loop Header: Depth=2
	s_sleep 1
	s_clause 0x1
	global_load_dwordx2 v[3:4], v17, s[6:7] offset:40
	global_load_dwordx2 v[32:33], v17, s[6:7]
	v_mov_b32_e32 v35, v1
	v_mov_b32_e32 v34, v0
	s_waitcnt vmcnt(1)
	v_and_b32_e32 v0, v3, v34
	v_and_b32_e32 v3, v4, v35
	s_waitcnt vmcnt(0)
	v_mad_u64_u32 v[0:1], null, v0, 24, v[32:33]
	v_mad_u64_u32 v[3:4], null, v3, 24, v[1:2]
	v_mov_b32_e32 v1, v3
	global_load_dwordx2 v[32:33], v[0:1], off glc dlc
	s_waitcnt vmcnt(0)
	global_atomic_cmpswap_x2 v[0:1], v17, v[32:35], s[6:7] offset:24 glc
	s_waitcnt vmcnt(0)
	buffer_gl1_inv
	buffer_gl0_inv
	v_cmp_eq_u64_e32 vcc_lo, v[0:1], v[34:35]
	s_or_b32 s17, vcc_lo, s17
	s_andn2_b32 exec_lo, exec_lo, s17
	s_cbranch_execnz .LBB4_197
; %bb.198:                              ;   in Loop: Header=BB4_145 Depth=1
	s_or_b32 exec_lo, exec_lo, s17
.LBB4_199:                              ;   in Loop: Header=BB4_145 Depth=1
	s_or_b32 exec_lo, exec_lo, s16
.LBB4_200:                              ;   in Loop: Header=BB4_145 Depth=1
	s_or_b32 exec_lo, exec_lo, s5
	s_clause 0x1
	global_load_dwordx2 v[3:4], v17, s[6:7] offset:40
	global_load_dwordx4 v[32:35], v17, s[6:7]
	v_readfirstlane_b32 s17, v1
	v_readfirstlane_b32 s16, v0
	s_mov_b32 s5, exec_lo
	s_waitcnt vmcnt(1)
	v_readfirstlane_b32 s18, v3
	v_readfirstlane_b32 s19, v4
	s_and_b64 s[18:19], s[18:19], s[16:17]
	s_mul_i32 s20, s19, 24
	s_mul_hi_u32 s21, s18, 24
	s_mul_i32 s22, s18, 24
	s_add_i32 s21, s21, s20
	s_waitcnt vmcnt(0)
	v_add_co_u32 v0, vcc_lo, v32, s22
	v_add_co_ci_u32_e64 v1, null, s21, v33, vcc_lo
	s_and_saveexec_b32 s20, s4
	s_cbranch_execz .LBB4_202
; %bb.201:                              ;   in Loop: Header=BB4_145 Depth=1
	v_mov_b32_e32 v16, s5
	global_store_dwordx4 v[0:1], v[16:19], off offset:8
.LBB4_202:                              ;   in Loop: Header=BB4_145 Depth=1
	s_or_b32 exec_lo, exec_lo, s20
	v_cmp_lt_u64_e64 vcc_lo, s[12:13], 57
	s_lshl_b64 s[18:19], s[18:19], 12
	v_and_b32_e32 v4, 0xffffff1f, v12
	s_lshl_b32 s5, s14, 2
	s_add_i32 s5, s5, 28
	v_cndmask_b32_e32 v3, 0, v5, vcc_lo
	v_add_co_u32 v34, vcc_lo, v34, s18
	v_add_co_ci_u32_e64 v35, null, s19, v35, vcc_lo
	v_or_b32_e32 v3, v4, v3
	v_readfirstlane_b32 s18, v34
	v_readfirstlane_b32 s19, v35
	v_and_or_b32 v12, 0x1e0, s5, v3
	global_store_dwordx4 v37, v[20:23], s[18:19] offset:16
	global_store_dwordx4 v37, v[12:15], s[18:19]
	global_store_dwordx4 v37, v[24:27], s[18:19] offset:32
	global_store_dwordx4 v37, v[28:31], s[18:19] offset:48
	s_and_saveexec_b32 s5, s4
	s_cbranch_execz .LBB4_210
; %bb.203:                              ;   in Loop: Header=BB4_145 Depth=1
	s_clause 0x1
	global_load_dwordx2 v[22:23], v17, s[6:7] offset:32 glc dlc
	global_load_dwordx2 v[3:4], v17, s[6:7] offset:40
	v_mov_b32_e32 v20, s16
	v_mov_b32_e32 v21, s17
	s_waitcnt vmcnt(0)
	v_readfirstlane_b32 s18, v3
	v_readfirstlane_b32 s19, v4
	s_and_b64 s[18:19], s[18:19], s[16:17]
	s_mul_i32 s19, s19, 24
	s_mul_hi_u32 s20, s18, 24
	s_mul_i32 s18, s18, 24
	s_add_i32 s20, s20, s19
	v_add_co_u32 v3, vcc_lo, v32, s18
	v_add_co_ci_u32_e64 v4, null, s20, v33, vcc_lo
	s_mov_b32 s18, exec_lo
	global_store_dwordx2 v[3:4], v[22:23], off
	s_waitcnt_vscnt null, 0x0
	global_atomic_cmpswap_x2 v[14:15], v17, v[20:23], s[6:7] offset:32 glc
	s_waitcnt vmcnt(0)
	v_cmpx_ne_u64_e64 v[14:15], v[22:23]
	s_cbranch_execz .LBB4_206
; %bb.204:                              ;   in Loop: Header=BB4_145 Depth=1
	s_mov_b32 s19, 0
.LBB4_205:                              ;   Parent Loop BB4_145 Depth=1
                                        ; =>  This Inner Loop Header: Depth=2
	v_mov_b32_e32 v12, s16
	v_mov_b32_e32 v13, s17
	s_sleep 1
	global_store_dwordx2 v[3:4], v[14:15], off
	s_waitcnt_vscnt null, 0x0
	global_atomic_cmpswap_x2 v[12:13], v17, v[12:15], s[6:7] offset:32 glc
	s_waitcnt vmcnt(0)
	v_cmp_eq_u64_e32 vcc_lo, v[12:13], v[14:15]
	v_mov_b32_e32 v15, v13
	v_mov_b32_e32 v14, v12
	s_or_b32 s19, vcc_lo, s19
	s_andn2_b32 exec_lo, exec_lo, s19
	s_cbranch_execnz .LBB4_205
.LBB4_206:                              ;   in Loop: Header=BB4_145 Depth=1
	s_or_b32 exec_lo, exec_lo, s18
	global_load_dwordx2 v[3:4], v17, s[6:7] offset:16
	s_mov_b32 s19, exec_lo
	s_mov_b32 s18, exec_lo
	v_mbcnt_lo_u32_b32 v12, s19, 0
	v_cmpx_eq_u32_e32 0, v12
	s_cbranch_execz .LBB4_208
; %bb.207:                              ;   in Loop: Header=BB4_145 Depth=1
	s_bcnt1_i32_b32 s19, s19
	v_mov_b32_e32 v16, s19
	s_waitcnt vmcnt(0)
	global_atomic_add_x2 v[3:4], v[16:17], off offset:8
.LBB4_208:                              ;   in Loop: Header=BB4_145 Depth=1
	s_or_b32 exec_lo, exec_lo, s18
	s_waitcnt vmcnt(0)
	global_load_dwordx2 v[12:13], v[3:4], off offset:16
	s_waitcnt vmcnt(0)
	v_cmp_eq_u64_e32 vcc_lo, 0, v[12:13]
	s_cbranch_vccnz .LBB4_210
; %bb.209:                              ;   in Loop: Header=BB4_145 Depth=1
	global_load_dword v16, v[3:4], off offset:24
	s_waitcnt vmcnt(0)
	v_readfirstlane_b32 s18, v16
	s_waitcnt_vscnt null, 0x0
	global_store_dwordx2 v[12:13], v[16:17], off
	s_and_b32 m0, s18, 0x7fffff
	s_sendmsg sendmsg(MSG_INTERRUPT)
.LBB4_210:                              ;   in Loop: Header=BB4_145 Depth=1
	s_or_b32 exec_lo, exec_lo, s5
	v_add_co_u32 v3, vcc_lo, v34, v37
	v_add_co_ci_u32_e64 v4, null, 0, v35, vcc_lo
	s_branch .LBB4_214
	.p2align	6
.LBB4_211:                              ;   in Loop: Header=BB4_214 Depth=2
	s_or_b32 exec_lo, exec_lo, s5
	v_readfirstlane_b32 s5, v12
	s_cmp_eq_u32 s5, 0
	s_cbranch_scc1 .LBB4_213
; %bb.212:                              ;   in Loop: Header=BB4_214 Depth=2
	s_sleep 1
	s_cbranch_execnz .LBB4_214
	s_branch .LBB4_216
	.p2align	6
.LBB4_213:                              ;   in Loop: Header=BB4_145 Depth=1
	s_branch .LBB4_216
.LBB4_214:                              ;   Parent Loop BB4_145 Depth=1
                                        ; =>  This Inner Loop Header: Depth=2
	v_mov_b32_e32 v12, 1
	s_and_saveexec_b32 s5, s4
	s_cbranch_execz .LBB4_211
; %bb.215:                              ;   in Loop: Header=BB4_214 Depth=2
	global_load_dword v12, v[0:1], off offset:20 glc dlc
	s_waitcnt vmcnt(0)
	buffer_gl1_inv
	buffer_gl0_inv
	v_and_b32_e32 v12, 1, v12
	s_branch .LBB4_211
.LBB4_216:                              ;   in Loop: Header=BB4_145 Depth=1
	global_load_dwordx2 v[12:13], v[3:4], off
	s_and_saveexec_b32 s18, s4
	s_cbranch_execz .LBB4_144
; %bb.217:                              ;   in Loop: Header=BB4_145 Depth=1
	s_clause 0x2
	global_load_dwordx2 v[0:1], v17, s[6:7] offset:40
	global_load_dwordx2 v[24:25], v17, s[6:7] offset:24 glc dlc
	global_load_dwordx2 v[3:4], v17, s[6:7]
	s_waitcnt vmcnt(2)
	v_readfirstlane_b32 s20, v0
	v_readfirstlane_b32 s21, v1
	s_add_u32 s19, s20, 1
	s_addc_u32 s22, s21, 0
	s_add_u32 s4, s19, s16
	s_addc_u32 s5, s22, s17
	s_cmp_eq_u64 s[4:5], 0
	s_cselect_b32 s5, s22, s5
	s_cselect_b32 s4, s19, s4
	v_mov_b32_e32 v23, s5
	s_and_b64 s[16:17], s[4:5], s[20:21]
	v_mov_b32_e32 v22, s4
	s_mul_i32 s17, s17, 24
	s_mul_hi_u32 s19, s16, 24
	s_mul_i32 s16, s16, 24
	s_add_i32 s19, s19, s17
	s_waitcnt vmcnt(0)
	v_add_co_u32 v0, vcc_lo, v3, s16
	v_add_co_ci_u32_e64 v1, null, s19, v4, vcc_lo
	global_store_dwordx2 v[0:1], v[24:25], off
	s_waitcnt_vscnt null, 0x0
	global_atomic_cmpswap_x2 v[22:23], v17, v[22:25], s[6:7] offset:24 glc
	s_waitcnt vmcnt(0)
	v_cmp_ne_u64_e32 vcc_lo, v[22:23], v[24:25]
	s_and_b32 exec_lo, exec_lo, vcc_lo
	s_cbranch_execz .LBB4_144
; %bb.218:                              ;   in Loop: Header=BB4_145 Depth=1
	s_mov_b32 s16, 0
.LBB4_219:                              ;   Parent Loop BB4_145 Depth=1
                                        ; =>  This Inner Loop Header: Depth=2
	v_mov_b32_e32 v20, s4
	v_mov_b32_e32 v21, s5
	s_sleep 1
	global_store_dwordx2 v[0:1], v[22:23], off
	s_waitcnt_vscnt null, 0x0
	global_atomic_cmpswap_x2 v[3:4], v17, v[20:23], s[6:7] offset:24 glc
	s_waitcnt vmcnt(0)
	v_cmp_eq_u64_e32 vcc_lo, v[3:4], v[22:23]
	v_mov_b32_e32 v23, v4
	v_mov_b32_e32 v22, v3
	s_or_b32 s16, vcc_lo, s16
	s_andn2_b32 exec_lo, exec_lo, s16
	s_cbranch_execnz .LBB4_219
	s_branch .LBB4_144
.LBB4_220:
                                        ; implicit-def: $vgpr12_vgpr13
	s_cbranch_execnz .LBB4_222
	s_branch .LBB4_249
.LBB4_221:
	s_branch .LBB4_249
.LBB4_222:
	v_readfirstlane_b32 s4, v36
	v_mov_b32_e32 v0, 0
	v_mov_b32_e32 v1, 0
	v_cmp_eq_u32_e64 s4, s4, v36
	s_and_saveexec_b32 s5, s4
	s_cbranch_execz .LBB4_228
; %bb.223:
	v_mov_b32_e32 v3, 0
	s_mov_b32 s10, exec_lo
	global_load_dwordx2 v[14:15], v3, s[6:7] offset:24 glc dlc
	s_waitcnt vmcnt(0)
	buffer_gl1_inv
	buffer_gl0_inv
	s_clause 0x1
	global_load_dwordx2 v[0:1], v3, s[6:7] offset:40
	global_load_dwordx2 v[4:5], v3, s[6:7]
	s_waitcnt vmcnt(1)
	v_and_b32_e32 v1, v1, v15
	v_and_b32_e32 v0, v0, v14
	v_mul_lo_u32 v1, v1, 24
	v_mul_hi_u32 v12, v0, 24
	v_mul_lo_u32 v0, v0, 24
	v_add_nc_u32_e32 v1, v12, v1
	s_waitcnt vmcnt(0)
	v_add_co_u32 v0, vcc_lo, v4, v0
	v_add_co_ci_u32_e64 v1, null, v5, v1, vcc_lo
	global_load_dwordx2 v[12:13], v[0:1], off glc dlc
	s_waitcnt vmcnt(0)
	global_atomic_cmpswap_x2 v[0:1], v3, v[12:15], s[6:7] offset:24 glc
	s_waitcnt vmcnt(0)
	buffer_gl1_inv
	buffer_gl0_inv
	v_cmpx_ne_u64_e64 v[0:1], v[14:15]
	s_cbranch_execz .LBB4_227
; %bb.224:
	s_mov_b32 s11, 0
	.p2align	6
.LBB4_225:                              ; =>This Inner Loop Header: Depth=1
	s_sleep 1
	s_clause 0x1
	global_load_dwordx2 v[4:5], v3, s[6:7] offset:40
	global_load_dwordx2 v[12:13], v3, s[6:7]
	v_mov_b32_e32 v15, v1
	v_mov_b32_e32 v14, v0
	s_waitcnt vmcnt(1)
	v_and_b32_e32 v0, v4, v14
	v_and_b32_e32 v4, v5, v15
	s_waitcnt vmcnt(0)
	v_mad_u64_u32 v[0:1], null, v0, 24, v[12:13]
	v_mad_u64_u32 v[4:5], null, v4, 24, v[1:2]
	v_mov_b32_e32 v1, v4
	global_load_dwordx2 v[12:13], v[0:1], off glc dlc
	s_waitcnt vmcnt(0)
	global_atomic_cmpswap_x2 v[0:1], v3, v[12:15], s[6:7] offset:24 glc
	s_waitcnt vmcnt(0)
	buffer_gl1_inv
	buffer_gl0_inv
	v_cmp_eq_u64_e32 vcc_lo, v[0:1], v[14:15]
	s_or_b32 s11, vcc_lo, s11
	s_andn2_b32 exec_lo, exec_lo, s11
	s_cbranch_execnz .LBB4_225
; %bb.226:
	s_or_b32 exec_lo, exec_lo, s11
.LBB4_227:
	s_or_b32 exec_lo, exec_lo, s10
.LBB4_228:
	s_or_b32 exec_lo, exec_lo, s5
	s_waitcnt vmcnt(0)
	v_mov_b32_e32 v12, 0
	v_readfirstlane_b32 s11, v1
	v_readfirstlane_b32 s10, v0
	s_mov_b32 s5, exec_lo
	s_clause 0x1
	global_load_dwordx2 v[3:4], v12, s[6:7] offset:40
	global_load_dwordx4 v[14:17], v12, s[6:7]
	s_waitcnt vmcnt(1)
	v_readfirstlane_b32 s12, v3
	v_readfirstlane_b32 s13, v4
	s_and_b64 s[12:13], s[12:13], s[10:11]
	s_mul_i32 s14, s13, 24
	s_mul_hi_u32 s15, s12, 24
	s_mul_i32 s16, s12, 24
	s_add_i32 s15, s15, s14
	s_waitcnt vmcnt(0)
	v_add_co_u32 v0, vcc_lo, v14, s16
	v_add_co_ci_u32_e64 v1, null, s15, v15, vcc_lo
	s_and_saveexec_b32 s14, s4
	s_cbranch_execz .LBB4_230
; %bb.229:
	v_mov_b32_e32 v18, s5
	v_mov_b32_e32 v19, v12
	;; [unrolled: 1-line block ×4, first 2 shown]
	global_store_dwordx4 v[0:1], v[18:21], off offset:8
.LBB4_230:
	s_or_b32 exec_lo, exec_lo, s14
	s_lshl_b64 s[12:13], s[12:13], 12
	v_and_or_b32 v10, 0xffffff1f, v10, 32
	v_add_co_u32 v3, vcc_lo, v16, s12
	v_add_co_ci_u32_e64 v4, null, s13, v17, vcc_lo
	s_mov_b32 s12, 0
	v_readfirstlane_b32 s16, v3
	s_mov_b32 s15, s12
	v_add_co_u32 v3, vcc_lo, v3, v37
	s_mov_b32 s13, s12
	s_mov_b32 s14, s12
	v_mov_b32_e32 v13, v12
	v_readfirstlane_b32 s17, v4
	v_mov_b32_e32 v19, s15
	v_add_co_ci_u32_e64 v4, null, 0, v4, vcc_lo
	v_mov_b32_e32 v18, s14
	v_mov_b32_e32 v17, s13
	v_mov_b32_e32 v16, s12
	global_store_dwordx4 v37, v[10:13], s[16:17]
	global_store_dwordx4 v37, v[16:19], s[16:17] offset:16
	global_store_dwordx4 v37, v[16:19], s[16:17] offset:32
	global_store_dwordx4 v37, v[16:19], s[16:17] offset:48
	s_and_saveexec_b32 s5, s4
	s_cbranch_execz .LBB4_238
; %bb.231:
	v_mov_b32_e32 v5, 0
	v_mov_b32_e32 v16, s10
	;; [unrolled: 1-line block ×3, first 2 shown]
	s_clause 0x1
	global_load_dwordx2 v[18:19], v5, s[6:7] offset:32 glc dlc
	global_load_dwordx2 v[10:11], v5, s[6:7] offset:40
	s_waitcnt vmcnt(0)
	v_readfirstlane_b32 s12, v10
	v_readfirstlane_b32 s13, v11
	s_and_b64 s[12:13], s[12:13], s[10:11]
	s_mul_i32 s13, s13, 24
	s_mul_hi_u32 s14, s12, 24
	s_mul_i32 s12, s12, 24
	s_add_i32 s14, s14, s13
	v_add_co_u32 v14, vcc_lo, v14, s12
	v_add_co_ci_u32_e64 v15, null, s14, v15, vcc_lo
	s_mov_b32 s12, exec_lo
	global_store_dwordx2 v[14:15], v[18:19], off
	s_waitcnt_vscnt null, 0x0
	global_atomic_cmpswap_x2 v[12:13], v5, v[16:19], s[6:7] offset:32 glc
	s_waitcnt vmcnt(0)
	v_cmpx_ne_u64_e64 v[12:13], v[18:19]
	s_cbranch_execz .LBB4_234
; %bb.232:
	s_mov_b32 s13, 0
.LBB4_233:                              ; =>This Inner Loop Header: Depth=1
	v_mov_b32_e32 v10, s10
	v_mov_b32_e32 v11, s11
	s_sleep 1
	global_store_dwordx2 v[14:15], v[12:13], off
	s_waitcnt_vscnt null, 0x0
	global_atomic_cmpswap_x2 v[10:11], v5, v[10:13], s[6:7] offset:32 glc
	s_waitcnt vmcnt(0)
	v_cmp_eq_u64_e32 vcc_lo, v[10:11], v[12:13]
	v_mov_b32_e32 v13, v11
	v_mov_b32_e32 v12, v10
	s_or_b32 s13, vcc_lo, s13
	s_andn2_b32 exec_lo, exec_lo, s13
	s_cbranch_execnz .LBB4_233
.LBB4_234:
	s_or_b32 exec_lo, exec_lo, s12
	v_mov_b32_e32 v13, 0
	s_mov_b32 s13, exec_lo
	s_mov_b32 s12, exec_lo
	v_mbcnt_lo_u32_b32 v5, s13, 0
	global_load_dwordx2 v[10:11], v13, s[6:7] offset:16
	v_cmpx_eq_u32_e32 0, v5
	s_cbranch_execz .LBB4_236
; %bb.235:
	s_bcnt1_i32_b32 s13, s13
	v_mov_b32_e32 v12, s13
	s_waitcnt vmcnt(0)
	global_atomic_add_x2 v[10:11], v[12:13], off offset:8
.LBB4_236:
	s_or_b32 exec_lo, exec_lo, s12
	s_waitcnt vmcnt(0)
	global_load_dwordx2 v[12:13], v[10:11], off offset:16
	s_waitcnt vmcnt(0)
	v_cmp_eq_u64_e32 vcc_lo, 0, v[12:13]
	s_cbranch_vccnz .LBB4_238
; %bb.237:
	global_load_dword v10, v[10:11], off offset:24
	v_mov_b32_e32 v11, 0
	s_waitcnt vmcnt(0)
	v_readfirstlane_b32 s12, v10
	s_waitcnt_vscnt null, 0x0
	global_store_dwordx2 v[12:13], v[10:11], off
	s_and_b32 m0, s12, 0x7fffff
	s_sendmsg sendmsg(MSG_INTERRUPT)
.LBB4_238:
	s_or_b32 exec_lo, exec_lo, s5
	s_branch .LBB4_242
	.p2align	6
.LBB4_239:                              ;   in Loop: Header=BB4_242 Depth=1
	s_or_b32 exec_lo, exec_lo, s5
	v_readfirstlane_b32 s5, v5
	s_cmp_eq_u32 s5, 0
	s_cbranch_scc1 .LBB4_241
; %bb.240:                              ;   in Loop: Header=BB4_242 Depth=1
	s_sleep 1
	s_cbranch_execnz .LBB4_242
	s_branch .LBB4_244
	.p2align	6
.LBB4_241:
	s_branch .LBB4_244
.LBB4_242:                              ; =>This Inner Loop Header: Depth=1
	v_mov_b32_e32 v5, 1
	s_and_saveexec_b32 s5, s4
	s_cbranch_execz .LBB4_239
; %bb.243:                              ;   in Loop: Header=BB4_242 Depth=1
	global_load_dword v5, v[0:1], off offset:20 glc dlc
	s_waitcnt vmcnt(0)
	buffer_gl1_inv
	buffer_gl0_inv
	v_and_b32_e32 v5, 1, v5
	s_branch .LBB4_239
.LBB4_244:
	global_load_dwordx2 v[12:13], v[3:4], off
	s_and_saveexec_b32 s12, s4
	s_cbranch_execz .LBB4_248
; %bb.245:
	v_mov_b32_e32 v3, 0
	s_clause 0x2
	global_load_dwordx2 v[0:1], v3, s[6:7] offset:40
	global_load_dwordx2 v[18:19], v3, s[6:7] offset:24 glc dlc
	global_load_dwordx2 v[4:5], v3, s[6:7]
	s_waitcnt vmcnt(2)
	v_readfirstlane_b32 s14, v0
	v_readfirstlane_b32 s15, v1
	s_add_u32 s13, s14, 1
	s_addc_u32 s16, s15, 0
	s_add_u32 s4, s13, s10
	s_addc_u32 s5, s16, s11
	s_cmp_eq_u64 s[4:5], 0
	s_cselect_b32 s5, s16, s5
	s_cselect_b32 s4, s13, s4
	v_mov_b32_e32 v17, s5
	s_and_b64 s[10:11], s[4:5], s[14:15]
	v_mov_b32_e32 v16, s4
	s_mul_i32 s11, s11, 24
	s_mul_hi_u32 s13, s10, 24
	s_mul_i32 s10, s10, 24
	s_add_i32 s13, s13, s11
	s_waitcnt vmcnt(0)
	v_add_co_u32 v0, vcc_lo, v4, s10
	v_add_co_ci_u32_e64 v1, null, s13, v5, vcc_lo
	global_store_dwordx2 v[0:1], v[18:19], off
	s_waitcnt_vscnt null, 0x0
	global_atomic_cmpswap_x2 v[16:17], v3, v[16:19], s[6:7] offset:24 glc
	s_waitcnt vmcnt(0)
	v_cmp_ne_u64_e32 vcc_lo, v[16:17], v[18:19]
	s_and_b32 exec_lo, exec_lo, vcc_lo
	s_cbranch_execz .LBB4_248
; %bb.246:
	s_mov_b32 s10, 0
.LBB4_247:                              ; =>This Inner Loop Header: Depth=1
	v_mov_b32_e32 v14, s4
	v_mov_b32_e32 v15, s5
	s_sleep 1
	global_store_dwordx2 v[0:1], v[16:17], off
	s_waitcnt_vscnt null, 0x0
	global_atomic_cmpswap_x2 v[4:5], v3, v[14:17], s[6:7] offset:24 glc
	s_waitcnt vmcnt(0)
	v_cmp_eq_u64_e32 vcc_lo, v[4:5], v[16:17]
	v_mov_b32_e32 v17, v5
	v_mov_b32_e32 v16, v4
	s_or_b32 s10, vcc_lo, s10
	s_andn2_b32 exec_lo, exec_lo, s10
	s_cbranch_execnz .LBB4_247
.LBB4_248:
	s_or_b32 exec_lo, exec_lo, s12
.LBB4_249:
	v_readfirstlane_b32 s4, v36
	v_mov_b32_e32 v0, 0
	v_mov_b32_e32 v1, 0
	v_cmp_eq_u32_e64 s4, s4, v36
	s_and_saveexec_b32 s5, s4
	s_cbranch_execz .LBB4_255
; %bb.250:
	v_mov_b32_e32 v3, 0
	s_mov_b32 s10, exec_lo
	global_load_dwordx2 v[16:17], v3, s[6:7] offset:24 glc dlc
	s_waitcnt vmcnt(0)
	buffer_gl1_inv
	buffer_gl0_inv
	s_clause 0x1
	global_load_dwordx2 v[0:1], v3, s[6:7] offset:40
	global_load_dwordx2 v[4:5], v3, s[6:7]
	s_waitcnt vmcnt(1)
	v_and_b32_e32 v1, v1, v17
	v_and_b32_e32 v0, v0, v16
	v_mul_lo_u32 v1, v1, 24
	v_mul_hi_u32 v10, v0, 24
	v_mul_lo_u32 v0, v0, 24
	v_add_nc_u32_e32 v1, v10, v1
	s_waitcnt vmcnt(0)
	v_add_co_u32 v0, vcc_lo, v4, v0
	v_add_co_ci_u32_e64 v1, null, v5, v1, vcc_lo
	global_load_dwordx2 v[14:15], v[0:1], off glc dlc
	s_waitcnt vmcnt(0)
	global_atomic_cmpswap_x2 v[0:1], v3, v[14:17], s[6:7] offset:24 glc
	s_waitcnt vmcnt(0)
	buffer_gl1_inv
	buffer_gl0_inv
	v_cmpx_ne_u64_e64 v[0:1], v[16:17]
	s_cbranch_execz .LBB4_254
; %bb.251:
	s_mov_b32 s11, 0
	.p2align	6
.LBB4_252:                              ; =>This Inner Loop Header: Depth=1
	s_sleep 1
	s_clause 0x1
	global_load_dwordx2 v[4:5], v3, s[6:7] offset:40
	global_load_dwordx2 v[10:11], v3, s[6:7]
	v_mov_b32_e32 v17, v1
	v_mov_b32_e32 v16, v0
	s_waitcnt vmcnt(1)
	v_and_b32_e32 v0, v4, v16
	v_and_b32_e32 v4, v5, v17
	s_waitcnt vmcnt(0)
	v_mad_u64_u32 v[0:1], null, v0, 24, v[10:11]
	v_mad_u64_u32 v[4:5], null, v4, 24, v[1:2]
	v_mov_b32_e32 v1, v4
	global_load_dwordx2 v[14:15], v[0:1], off glc dlc
	s_waitcnt vmcnt(0)
	global_atomic_cmpswap_x2 v[0:1], v3, v[14:17], s[6:7] offset:24 glc
	s_waitcnt vmcnt(0)
	buffer_gl1_inv
	buffer_gl0_inv
	v_cmp_eq_u64_e32 vcc_lo, v[0:1], v[16:17]
	s_or_b32 s11, vcc_lo, s11
	s_andn2_b32 exec_lo, exec_lo, s11
	s_cbranch_execnz .LBB4_252
; %bb.253:
	s_or_b32 exec_lo, exec_lo, s11
.LBB4_254:
	s_or_b32 exec_lo, exec_lo, s10
.LBB4_255:
	s_or_b32 exec_lo, exec_lo, s5
	v_mov_b32_e32 v15, 0
	v_readfirstlane_b32 s11, v1
	v_readfirstlane_b32 s10, v0
	s_mov_b32 s5, exec_lo
	s_clause 0x1
	global_load_dwordx2 v[3:4], v15, s[6:7] offset:40
	global_load_dwordx4 v[16:19], v15, s[6:7]
	s_waitcnt vmcnt(1)
	v_readfirstlane_b32 s12, v3
	v_readfirstlane_b32 s13, v4
	s_and_b64 s[12:13], s[12:13], s[10:11]
	s_mul_i32 s14, s13, 24
	s_mul_hi_u32 s15, s12, 24
	s_mul_i32 s16, s12, 24
	s_add_i32 s15, s15, s14
	s_waitcnt vmcnt(0)
	v_add_co_u32 v4, vcc_lo, v16, s16
	v_add_co_ci_u32_e64 v5, null, s15, v17, vcc_lo
	s_and_saveexec_b32 s14, s4
	s_cbranch_execz .LBB4_257
; %bb.256:
	v_mov_b32_e32 v14, s5
	v_mov_b32_e32 v21, v15
	;; [unrolled: 1-line block ×5, first 2 shown]
	global_store_dwordx4 v[4:5], v[20:23], off offset:8
.LBB4_257:
	s_or_b32 exec_lo, exec_lo, s14
	s_lshl_b64 s[12:13], s[12:13], 12
	v_and_or_b32 v12, 0xffffff1f, v12, 32
	v_add_co_u32 v10, vcc_lo, v18, s12
	v_add_co_ci_u32_e64 v11, null, s13, v19, vcc_lo
	s_mov_b32 s12, 0
	v_readfirstlane_b32 s16, v10
	v_add_co_u32 v10, vcc_lo, v10, v37
	s_mov_b32 s13, s12
	s_mov_b32 s14, s12
	;; [unrolled: 1-line block ×3, first 2 shown]
	v_mov_b32_e32 v14, v2
	v_readfirstlane_b32 s17, v11
	v_mov_b32_e32 v0, s12
	v_add_co_ci_u32_e64 v11, null, 0, v11, vcc_lo
	v_mov_b32_e32 v1, s13
	v_mov_b32_e32 v2, s14
	;; [unrolled: 1-line block ×3, first 2 shown]
	global_store_dwordx4 v37, v[12:15], s[16:17]
	global_store_dwordx4 v37, v[0:3], s[16:17] offset:16
	global_store_dwordx4 v37, v[0:3], s[16:17] offset:32
	;; [unrolled: 1-line block ×3, first 2 shown]
	s_and_saveexec_b32 s5, s4
	s_cbranch_execz .LBB4_265
; %bb.258:
	v_mov_b32_e32 v14, 0
	s_clause 0x1
	global_load_dwordx2 v[18:19], v14, s[6:7] offset:32 glc dlc
	global_load_dwordx2 v[0:1], v14, s[6:7] offset:40
	s_waitcnt vmcnt(0)
	v_readfirstlane_b32 s12, v0
	v_readfirstlane_b32 s13, v1
	s_and_b64 s[12:13], s[12:13], s[10:11]
	s_mul_i32 s13, s13, 24
	s_mul_hi_u32 s14, s12, 24
	s_mul_i32 s12, s12, 24
	s_add_i32 s14, s14, s13
	v_add_co_u32 v12, vcc_lo, v16, s12
	v_add_co_ci_u32_e64 v13, null, s14, v17, vcc_lo
	v_mov_b32_e32 v16, s10
	v_mov_b32_e32 v17, s11
	s_mov_b32 s12, exec_lo
	global_store_dwordx2 v[12:13], v[18:19], off
	s_waitcnt_vscnt null, 0x0
	global_atomic_cmpswap_x2 v[2:3], v14, v[16:19], s[6:7] offset:32 glc
	s_waitcnt vmcnt(0)
	v_cmpx_ne_u64_e64 v[2:3], v[18:19]
	s_cbranch_execz .LBB4_261
; %bb.259:
	s_mov_b32 s13, 0
.LBB4_260:                              ; =>This Inner Loop Header: Depth=1
	v_mov_b32_e32 v0, s10
	v_mov_b32_e32 v1, s11
	s_sleep 1
	global_store_dwordx2 v[12:13], v[2:3], off
	s_waitcnt_vscnt null, 0x0
	global_atomic_cmpswap_x2 v[0:1], v14, v[0:3], s[6:7] offset:32 glc
	s_waitcnt vmcnt(0)
	v_cmp_eq_u64_e32 vcc_lo, v[0:1], v[2:3]
	v_mov_b32_e32 v3, v1
	v_mov_b32_e32 v2, v0
	s_or_b32 s13, vcc_lo, s13
	s_andn2_b32 exec_lo, exec_lo, s13
	s_cbranch_execnz .LBB4_260
.LBB4_261:
	s_or_b32 exec_lo, exec_lo, s12
	v_mov_b32_e32 v3, 0
	s_mov_b32 s13, exec_lo
	s_mov_b32 s12, exec_lo
	v_mbcnt_lo_u32_b32 v2, s13, 0
	global_load_dwordx2 v[0:1], v3, s[6:7] offset:16
	v_cmpx_eq_u32_e32 0, v2
	s_cbranch_execz .LBB4_263
; %bb.262:
	s_bcnt1_i32_b32 s13, s13
	v_mov_b32_e32 v2, s13
	s_waitcnt vmcnt(0)
	global_atomic_add_x2 v[0:1], v[2:3], off offset:8
.LBB4_263:
	s_or_b32 exec_lo, exec_lo, s12
	s_waitcnt vmcnt(0)
	global_load_dwordx2 v[2:3], v[0:1], off offset:16
	s_waitcnt vmcnt(0)
	v_cmp_eq_u64_e32 vcc_lo, 0, v[2:3]
	s_cbranch_vccnz .LBB4_265
; %bb.264:
	global_load_dword v0, v[0:1], off offset:24
	v_mov_b32_e32 v1, 0
	s_waitcnt vmcnt(0)
	v_readfirstlane_b32 s12, v0
	s_waitcnt_vscnt null, 0x0
	global_store_dwordx2 v[2:3], v[0:1], off
	s_and_b32 m0, s12, 0x7fffff
	s_sendmsg sendmsg(MSG_INTERRUPT)
.LBB4_265:
	s_or_b32 exec_lo, exec_lo, s5
	s_branch .LBB4_269
	.p2align	6
.LBB4_266:                              ;   in Loop: Header=BB4_269 Depth=1
	s_or_b32 exec_lo, exec_lo, s5
	v_readfirstlane_b32 s5, v0
	s_cmp_eq_u32 s5, 0
	s_cbranch_scc1 .LBB4_268
; %bb.267:                              ;   in Loop: Header=BB4_269 Depth=1
	s_sleep 1
	s_cbranch_execnz .LBB4_269
	s_branch .LBB4_271
	.p2align	6
.LBB4_268:
	s_branch .LBB4_271
.LBB4_269:                              ; =>This Inner Loop Header: Depth=1
	v_mov_b32_e32 v0, 1
	s_and_saveexec_b32 s5, s4
	s_cbranch_execz .LBB4_266
; %bb.270:                              ;   in Loop: Header=BB4_269 Depth=1
	global_load_dword v0, v[4:5], off offset:20 glc dlc
	s_waitcnt vmcnt(0)
	buffer_gl1_inv
	buffer_gl0_inv
	v_and_b32_e32 v0, 1, v0
	s_branch .LBB4_266
.LBB4_271:
	global_load_dwordx2 v[0:1], v[10:11], off
	s_and_saveexec_b32 s12, s4
	s_cbranch_execz .LBB4_275
; %bb.272:
	v_mov_b32_e32 v12, 0
	s_clause 0x2
	global_load_dwordx2 v[2:3], v12, s[6:7] offset:40
	global_load_dwordx2 v[15:16], v12, s[6:7] offset:24 glc dlc
	global_load_dwordx2 v[4:5], v12, s[6:7]
	s_waitcnt vmcnt(2)
	v_readfirstlane_b32 s14, v2
	v_readfirstlane_b32 s15, v3
	s_add_u32 s13, s14, 1
	s_addc_u32 s16, s15, 0
	s_add_u32 s4, s13, s10
	s_addc_u32 s5, s16, s11
	s_cmp_eq_u64 s[4:5], 0
	s_cselect_b32 s5, s16, s5
	s_cselect_b32 s4, s13, s4
	v_mov_b32_e32 v14, s5
	s_and_b64 s[10:11], s[4:5], s[14:15]
	v_mov_b32_e32 v13, s4
	s_mul_i32 s11, s11, 24
	s_mul_hi_u32 s13, s10, 24
	s_mul_i32 s10, s10, 24
	s_add_i32 s13, s13, s11
	s_waitcnt vmcnt(0)
	v_add_co_u32 v10, vcc_lo, v4, s10
	v_add_co_ci_u32_e64 v11, null, s13, v5, vcc_lo
	global_store_dwordx2 v[10:11], v[15:16], off
	s_waitcnt_vscnt null, 0x0
	global_atomic_cmpswap_x2 v[4:5], v12, v[13:16], s[6:7] offset:24 glc
	s_waitcnt vmcnt(0)
	v_cmp_ne_u64_e32 vcc_lo, v[4:5], v[15:16]
	s_and_b32 exec_lo, exec_lo, vcc_lo
	s_cbranch_execz .LBB4_275
; %bb.273:
	s_mov_b32 s10, 0
.LBB4_274:                              ; =>This Inner Loop Header: Depth=1
	v_mov_b32_e32 v2, s4
	v_mov_b32_e32 v3, s5
	s_sleep 1
	global_store_dwordx2 v[10:11], v[4:5], off
	s_waitcnt_vscnt null, 0x0
	global_atomic_cmpswap_x2 v[2:3], v12, v[2:5], s[6:7] offset:24 glc
	s_waitcnt vmcnt(0)
	v_cmp_eq_u64_e32 vcc_lo, v[2:3], v[4:5]
	v_mov_b32_e32 v5, v3
	v_mov_b32_e32 v4, v2
	s_or_b32 s10, vcc_lo, s10
	s_andn2_b32 exec_lo, exec_lo, s10
	s_cbranch_execnz .LBB4_274
.LBB4_275:
	s_or_b32 exec_lo, exec_lo, s12
	v_mov_b32_e32 v3, v6
	v_mov_b32_e32 v4, v7
	s_mov_b32 s4, 0
.LBB4_276:                              ; =>This Inner Loop Header: Depth=1
	global_load_ubyte v5, v[3:4], off
	v_add_co_u32 v2, vcc_lo, v3, 1
	v_add_co_ci_u32_e64 v3, null, 0, v4, vcc_lo
	v_mov_b32_e32 v4, v3
	v_mov_b32_e32 v3, v2
	s_waitcnt vmcnt(0)
	v_cmp_eq_u16_e32 vcc_lo, 0, v5
	s_or_b32 s4, vcc_lo, s4
	s_andn2_b32 exec_lo, exec_lo, s4
	s_cbranch_execnz .LBB4_276
; %bb.277:
	s_or_b32 exec_lo, exec_lo, s4
	s_mov_b32 s4, exec_lo
	v_cmpx_ne_u64_e32 0, v[6:7]
	s_xor_b32 s14, exec_lo, s4
	s_cbranch_execz .LBB4_363
; %bb.278:
	v_sub_nc_u32_e32 v30, v2, v6
	v_and_b32_e32 v34, 2, v0
	v_mov_b32_e32 v11, 0
	v_and_b32_e32 v0, -3, v0
	v_mov_b32_e32 v12, 2
	v_ashrrev_i32_e32 v31, 31, v30
	v_mov_b32_e32 v13, 1
	s_mov_b32 s16, 0
	s_mov_b32 s15, 0
	s_branch .LBB4_280
.LBB4_279:                              ;   in Loop: Header=BB4_280 Depth=1
	s_or_b32 exec_lo, exec_lo, s12
	v_sub_co_u32 v30, vcc_lo, v30, v32
	v_sub_co_ci_u32_e64 v31, null, v31, v33, vcc_lo
	v_add_co_u32 v6, s4, v6, v32
	v_add_co_ci_u32_e64 v7, null, v7, v33, s4
	v_cmp_eq_u64_e32 vcc_lo, 0, v[30:31]
	s_or_b32 s15, vcc_lo, s15
	s_andn2_b32 exec_lo, exec_lo, s15
	s_cbranch_execz .LBB4_362
.LBB4_280:                              ; =>This Loop Header: Depth=1
                                        ;     Child Loop BB4_283 Depth 2
                                        ;     Child Loop BB4_291 Depth 2
	;; [unrolled: 1-line block ×11, first 2 shown]
	v_cmp_gt_u64_e32 vcc_lo, 56, v[30:31]
	s_mov_b32 s5, exec_lo
	v_cndmask_b32_e32 v33, 0, v31, vcc_lo
	v_cndmask_b32_e32 v32, 56, v30, vcc_lo
	v_add_co_u32 v16, vcc_lo, v6, 8
	v_add_co_ci_u32_e64 v17, null, 0, v7, vcc_lo
	v_cmpx_gt_u64_e32 8, v[30:31]
	s_xor_b32 s5, exec_lo, s5
	s_cbranch_execz .LBB4_286
; %bb.281:                              ;   in Loop: Header=BB4_280 Depth=1
	v_mov_b32_e32 v2, 0
	v_mov_b32_e32 v3, 0
	s_mov_b32 s12, exec_lo
	v_cmpx_ne_u64_e32 0, v[30:31]
	s_cbranch_execz .LBB4_285
; %bb.282:                              ;   in Loop: Header=BB4_280 Depth=1
	v_lshlrev_b64 v[4:5], 3, v[32:33]
	v_mov_b32_e32 v2, 0
	v_mov_b32_e32 v15, v7
	;; [unrolled: 1-line block ×4, first 2 shown]
	s_mov_b64 s[10:11], 0
	s_mov_b32 s13, 0
	.p2align	6
.LBB4_283:                              ;   Parent Loop BB4_280 Depth=1
                                        ; =>  This Inner Loop Header: Depth=2
	global_load_ubyte v5, v[14:15], off
	v_mov_b32_e32 v17, s16
	v_add_co_u32 v14, vcc_lo, v14, 1
	v_add_co_ci_u32_e64 v15, null, 0, v15, vcc_lo
	s_waitcnt vmcnt(0)
	v_and_b32_e32 v16, 0xffff, v5
	v_lshlrev_b64 v[16:17], s10, v[16:17]
	s_add_u32 s10, s10, 8
	s_addc_u32 s11, s11, 0
	v_cmp_eq_u32_e64 s4, s10, v4
	v_or_b32_e32 v3, v17, v3
	v_or_b32_e32 v2, v16, v2
	s_or_b32 s13, s4, s13
	s_andn2_b32 exec_lo, exec_lo, s13
	s_cbranch_execnz .LBB4_283
; %bb.284:                              ;   in Loop: Header=BB4_280 Depth=1
	s_or_b32 exec_lo, exec_lo, s13
.LBB4_285:                              ;   in Loop: Header=BB4_280 Depth=1
	s_or_b32 exec_lo, exec_lo, s12
	v_mov_b32_e32 v17, v7
	v_mov_b32_e32 v16, v6
.LBB4_286:                              ;   in Loop: Header=BB4_280 Depth=1
	s_or_saveexec_b32 s4, s5
	v_mov_b32_e32 v10, 0
	s_xor_b32 exec_lo, exec_lo, s4
	s_cbranch_execz .LBB4_288
; %bb.287:                              ;   in Loop: Header=BB4_280 Depth=1
	global_load_dwordx2 v[2:3], v[6:7], off
	v_add_nc_u32_e32 v10, -8, v32
.LBB4_288:                              ;   in Loop: Header=BB4_280 Depth=1
	s_or_b32 exec_lo, exec_lo, s4
	v_add_co_u32 v4, s4, v16, 8
	v_add_co_ci_u32_e64 v5, null, 0, v17, s4
                                        ; implicit-def: $vgpr14_vgpr15
	s_mov_b32 s4, exec_lo
	v_cmpx_gt_u32_e32 8, v10
	s_xor_b32 s12, exec_lo, s4
	s_cbranch_execz .LBB4_294
; %bb.289:                              ;   in Loop: Header=BB4_280 Depth=1
	v_mov_b32_e32 v14, 0
	v_mov_b32_e32 v15, 0
	s_mov_b32 s13, exec_lo
	v_cmpx_ne_u32_e32 0, v10
	s_cbranch_execz .LBB4_293
; %bb.290:                              ;   in Loop: Header=BB4_280 Depth=1
	v_mov_b32_e32 v14, 0
	v_mov_b32_e32 v15, 0
	s_mov_b64 s[4:5], 0
	s_mov_b32 s17, 0
	s_mov_b64 s[10:11], 0
	.p2align	6
.LBB4_291:                              ;   Parent Loop BB4_280 Depth=1
                                        ; =>  This Inner Loop Header: Depth=2
	v_add_co_u32 v4, vcc_lo, v16, s10
	v_add_co_ci_u32_e64 v5, null, s11, v17, vcc_lo
	s_add_u32 s10, s10, 1
	s_addc_u32 s11, s11, 0
	v_cmp_eq_u32_e32 vcc_lo, s10, v10
	global_load_ubyte v4, v[4:5], off
	v_mov_b32_e32 v5, s16
	s_waitcnt vmcnt(0)
	v_and_b32_e32 v4, 0xffff, v4
	v_lshlrev_b64 v[4:5], s4, v[4:5]
	s_add_u32 s4, s4, 8
	s_addc_u32 s5, s5, 0
	s_or_b32 s17, vcc_lo, s17
	v_or_b32_e32 v15, v5, v15
	v_or_b32_e32 v14, v4, v14
	s_andn2_b32 exec_lo, exec_lo, s17
	s_cbranch_execnz .LBB4_291
; %bb.292:                              ;   in Loop: Header=BB4_280 Depth=1
	s_or_b32 exec_lo, exec_lo, s17
.LBB4_293:                              ;   in Loop: Header=BB4_280 Depth=1
	s_or_b32 exec_lo, exec_lo, s13
	v_mov_b32_e32 v4, v16
	v_mov_b32_e32 v5, v17
                                        ; implicit-def: $vgpr10
.LBB4_294:                              ;   in Loop: Header=BB4_280 Depth=1
	s_or_saveexec_b32 s4, s12
	v_mov_b32_e32 v18, 0
	s_xor_b32 exec_lo, exec_lo, s4
	s_cbranch_execz .LBB4_296
; %bb.295:                              ;   in Loop: Header=BB4_280 Depth=1
	global_load_dwordx2 v[14:15], v[16:17], off
	v_add_nc_u32_e32 v18, -8, v10
.LBB4_296:                              ;   in Loop: Header=BB4_280 Depth=1
	s_or_b32 exec_lo, exec_lo, s4
	v_add_co_u32 v20, s4, v4, 8
	v_add_co_ci_u32_e64 v21, null, 0, v5, s4
	s_mov_b32 s4, exec_lo
	v_cmpx_gt_u32_e32 8, v18
	s_xor_b32 s12, exec_lo, s4
	s_cbranch_execz .LBB4_302
; %bb.297:                              ;   in Loop: Header=BB4_280 Depth=1
	v_mov_b32_e32 v16, 0
	v_mov_b32_e32 v17, 0
	s_mov_b32 s13, exec_lo
	v_cmpx_ne_u32_e32 0, v18
	s_cbranch_execz .LBB4_301
; %bb.298:                              ;   in Loop: Header=BB4_280 Depth=1
	v_mov_b32_e32 v16, 0
	v_mov_b32_e32 v17, 0
	s_mov_b64 s[4:5], 0
	s_mov_b32 s17, 0
	s_mov_b64 s[10:11], 0
	.p2align	6
.LBB4_299:                              ;   Parent Loop BB4_280 Depth=1
                                        ; =>  This Inner Loop Header: Depth=2
	v_add_co_u32 v19, vcc_lo, v4, s10
	v_add_co_ci_u32_e64 v20, null, s11, v5, vcc_lo
	s_add_u32 s10, s10, 1
	s_addc_u32 s11, s11, 0
	v_cmp_eq_u32_e32 vcc_lo, s10, v18
	global_load_ubyte v10, v[19:20], off
	v_mov_b32_e32 v20, s16
	s_waitcnt vmcnt(0)
	v_and_b32_e32 v19, 0xffff, v10
	v_lshlrev_b64 v[19:20], s4, v[19:20]
	s_add_u32 s4, s4, 8
	s_addc_u32 s5, s5, 0
	s_or_b32 s17, vcc_lo, s17
	v_or_b32_e32 v17, v20, v17
	v_or_b32_e32 v16, v19, v16
	s_andn2_b32 exec_lo, exec_lo, s17
	s_cbranch_execnz .LBB4_299
; %bb.300:                              ;   in Loop: Header=BB4_280 Depth=1
	s_or_b32 exec_lo, exec_lo, s17
.LBB4_301:                              ;   in Loop: Header=BB4_280 Depth=1
	s_or_b32 exec_lo, exec_lo, s13
	v_mov_b32_e32 v21, v5
	v_mov_b32_e32 v20, v4
                                        ; implicit-def: $vgpr18
.LBB4_302:                              ;   in Loop: Header=BB4_280 Depth=1
	s_or_saveexec_b32 s4, s12
	v_mov_b32_e32 v10, 0
	s_xor_b32 exec_lo, exec_lo, s4
	s_cbranch_execz .LBB4_304
; %bb.303:                              ;   in Loop: Header=BB4_280 Depth=1
	global_load_dwordx2 v[16:17], v[4:5], off
	v_add_nc_u32_e32 v10, -8, v18
.LBB4_304:                              ;   in Loop: Header=BB4_280 Depth=1
	s_or_b32 exec_lo, exec_lo, s4
	v_add_co_u32 v4, s4, v20, 8
	v_add_co_ci_u32_e64 v5, null, 0, v21, s4
                                        ; implicit-def: $vgpr18_vgpr19
	s_mov_b32 s4, exec_lo
	v_cmpx_gt_u32_e32 8, v10
	s_xor_b32 s12, exec_lo, s4
	s_cbranch_execz .LBB4_310
; %bb.305:                              ;   in Loop: Header=BB4_280 Depth=1
	v_mov_b32_e32 v18, 0
	v_mov_b32_e32 v19, 0
	s_mov_b32 s13, exec_lo
	v_cmpx_ne_u32_e32 0, v10
	s_cbranch_execz .LBB4_309
; %bb.306:                              ;   in Loop: Header=BB4_280 Depth=1
	v_mov_b32_e32 v18, 0
	v_mov_b32_e32 v19, 0
	s_mov_b64 s[4:5], 0
	s_mov_b32 s17, 0
	s_mov_b64 s[10:11], 0
	.p2align	6
.LBB4_307:                              ;   Parent Loop BB4_280 Depth=1
                                        ; =>  This Inner Loop Header: Depth=2
	v_add_co_u32 v4, vcc_lo, v20, s10
	v_add_co_ci_u32_e64 v5, null, s11, v21, vcc_lo
	s_add_u32 s10, s10, 1
	s_addc_u32 s11, s11, 0
	v_cmp_eq_u32_e32 vcc_lo, s10, v10
	global_load_ubyte v4, v[4:5], off
	v_mov_b32_e32 v5, s16
	s_waitcnt vmcnt(0)
	v_and_b32_e32 v4, 0xffff, v4
	v_lshlrev_b64 v[4:5], s4, v[4:5]
	s_add_u32 s4, s4, 8
	s_addc_u32 s5, s5, 0
	s_or_b32 s17, vcc_lo, s17
	v_or_b32_e32 v19, v5, v19
	v_or_b32_e32 v18, v4, v18
	s_andn2_b32 exec_lo, exec_lo, s17
	s_cbranch_execnz .LBB4_307
; %bb.308:                              ;   in Loop: Header=BB4_280 Depth=1
	s_or_b32 exec_lo, exec_lo, s17
.LBB4_309:                              ;   in Loop: Header=BB4_280 Depth=1
	s_or_b32 exec_lo, exec_lo, s13
	v_mov_b32_e32 v4, v20
	v_mov_b32_e32 v5, v21
                                        ; implicit-def: $vgpr10
.LBB4_310:                              ;   in Loop: Header=BB4_280 Depth=1
	s_or_saveexec_b32 s4, s12
	v_mov_b32_e32 v22, 0
	s_xor_b32 exec_lo, exec_lo, s4
	s_cbranch_execz .LBB4_312
; %bb.311:                              ;   in Loop: Header=BB4_280 Depth=1
	global_load_dwordx2 v[18:19], v[20:21], off
	v_add_nc_u32_e32 v22, -8, v10
.LBB4_312:                              ;   in Loop: Header=BB4_280 Depth=1
	s_or_b32 exec_lo, exec_lo, s4
	v_add_co_u32 v24, s4, v4, 8
	v_add_co_ci_u32_e64 v25, null, 0, v5, s4
	s_mov_b32 s4, exec_lo
	v_cmpx_gt_u32_e32 8, v22
	s_xor_b32 s12, exec_lo, s4
	s_cbranch_execz .LBB4_318
; %bb.313:                              ;   in Loop: Header=BB4_280 Depth=1
	v_mov_b32_e32 v20, 0
	v_mov_b32_e32 v21, 0
	s_mov_b32 s13, exec_lo
	v_cmpx_ne_u32_e32 0, v22
	s_cbranch_execz .LBB4_317
; %bb.314:                              ;   in Loop: Header=BB4_280 Depth=1
	v_mov_b32_e32 v20, 0
	v_mov_b32_e32 v21, 0
	s_mov_b64 s[4:5], 0
	s_mov_b32 s17, 0
	s_mov_b64 s[10:11], 0
	.p2align	6
.LBB4_315:                              ;   Parent Loop BB4_280 Depth=1
                                        ; =>  This Inner Loop Header: Depth=2
	v_add_co_u32 v23, vcc_lo, v4, s10
	v_add_co_ci_u32_e64 v24, null, s11, v5, vcc_lo
	s_add_u32 s10, s10, 1
	s_addc_u32 s11, s11, 0
	v_cmp_eq_u32_e32 vcc_lo, s10, v22
	global_load_ubyte v10, v[23:24], off
	v_mov_b32_e32 v24, s16
	s_waitcnt vmcnt(0)
	v_and_b32_e32 v23, 0xffff, v10
	v_lshlrev_b64 v[23:24], s4, v[23:24]
	s_add_u32 s4, s4, 8
	s_addc_u32 s5, s5, 0
	s_or_b32 s17, vcc_lo, s17
	v_or_b32_e32 v21, v24, v21
	v_or_b32_e32 v20, v23, v20
	s_andn2_b32 exec_lo, exec_lo, s17
	s_cbranch_execnz .LBB4_315
; %bb.316:                              ;   in Loop: Header=BB4_280 Depth=1
	s_or_b32 exec_lo, exec_lo, s17
.LBB4_317:                              ;   in Loop: Header=BB4_280 Depth=1
	s_or_b32 exec_lo, exec_lo, s13
	v_mov_b32_e32 v25, v5
	v_mov_b32_e32 v24, v4
                                        ; implicit-def: $vgpr22
.LBB4_318:                              ;   in Loop: Header=BB4_280 Depth=1
	s_or_saveexec_b32 s4, s12
	v_mov_b32_e32 v10, 0
	s_xor_b32 exec_lo, exec_lo, s4
	s_cbranch_execz .LBB4_320
; %bb.319:                              ;   in Loop: Header=BB4_280 Depth=1
	global_load_dwordx2 v[20:21], v[4:5], off
	v_add_nc_u32_e32 v10, -8, v22
.LBB4_320:                              ;   in Loop: Header=BB4_280 Depth=1
	s_or_b32 exec_lo, exec_lo, s4
	v_add_co_u32 v4, s4, v24, 8
	v_add_co_ci_u32_e64 v5, null, 0, v25, s4
                                        ; implicit-def: $vgpr22_vgpr23
	s_mov_b32 s4, exec_lo
	v_cmpx_gt_u32_e32 8, v10
	s_xor_b32 s12, exec_lo, s4
	s_cbranch_execz .LBB4_326
; %bb.321:                              ;   in Loop: Header=BB4_280 Depth=1
	v_mov_b32_e32 v22, 0
	v_mov_b32_e32 v23, 0
	s_mov_b32 s13, exec_lo
	v_cmpx_ne_u32_e32 0, v10
	s_cbranch_execz .LBB4_325
; %bb.322:                              ;   in Loop: Header=BB4_280 Depth=1
	v_mov_b32_e32 v22, 0
	v_mov_b32_e32 v23, 0
	s_mov_b64 s[4:5], 0
	s_mov_b32 s17, 0
	s_mov_b64 s[10:11], 0
	.p2align	6
.LBB4_323:                              ;   Parent Loop BB4_280 Depth=1
                                        ; =>  This Inner Loop Header: Depth=2
	v_add_co_u32 v4, vcc_lo, v24, s10
	v_add_co_ci_u32_e64 v5, null, s11, v25, vcc_lo
	s_add_u32 s10, s10, 1
	s_addc_u32 s11, s11, 0
	v_cmp_eq_u32_e32 vcc_lo, s10, v10
	global_load_ubyte v4, v[4:5], off
	v_mov_b32_e32 v5, s16
	s_waitcnt vmcnt(0)
	v_and_b32_e32 v4, 0xffff, v4
	v_lshlrev_b64 v[4:5], s4, v[4:5]
	s_add_u32 s4, s4, 8
	s_addc_u32 s5, s5, 0
	s_or_b32 s17, vcc_lo, s17
	v_or_b32_e32 v23, v5, v23
	v_or_b32_e32 v22, v4, v22
	s_andn2_b32 exec_lo, exec_lo, s17
	s_cbranch_execnz .LBB4_323
; %bb.324:                              ;   in Loop: Header=BB4_280 Depth=1
	s_or_b32 exec_lo, exec_lo, s17
.LBB4_325:                              ;   in Loop: Header=BB4_280 Depth=1
	s_or_b32 exec_lo, exec_lo, s13
	v_mov_b32_e32 v4, v24
	v_mov_b32_e32 v5, v25
                                        ; implicit-def: $vgpr10
.LBB4_326:                              ;   in Loop: Header=BB4_280 Depth=1
	s_or_saveexec_b32 s4, s12
	v_mov_b32_e32 v26, 0
	s_xor_b32 exec_lo, exec_lo, s4
	s_cbranch_execz .LBB4_328
; %bb.327:                              ;   in Loop: Header=BB4_280 Depth=1
	global_load_dwordx2 v[22:23], v[24:25], off
	v_add_nc_u32_e32 v26, -8, v10
.LBB4_328:                              ;   in Loop: Header=BB4_280 Depth=1
	s_or_b32 exec_lo, exec_lo, s4
	s_mov_b32 s4, exec_lo
	v_cmpx_gt_u32_e32 8, v26
	s_xor_b32 s10, exec_lo, s4
	s_cbranch_execz .LBB4_334
; %bb.329:                              ;   in Loop: Header=BB4_280 Depth=1
	v_mov_b32_e32 v24, 0
	v_mov_b32_e32 v25, 0
	s_mov_b32 s11, exec_lo
	v_cmpx_ne_u32_e32 0, v26
	s_cbranch_execz .LBB4_333
; %bb.330:                              ;   in Loop: Header=BB4_280 Depth=1
	v_mov_b32_e32 v24, 0
	v_mov_b32_e32 v25, 0
	s_mov_b64 s[4:5], 0
	s_mov_b32 s12, 0
	.p2align	6
.LBB4_331:                              ;   Parent Loop BB4_280 Depth=1
                                        ; =>  This Inner Loop Header: Depth=2
	global_load_ubyte v10, v[4:5], off
	v_mov_b32_e32 v28, s16
	v_add_nc_u32_e32 v26, -1, v26
	v_add_co_u32 v4, vcc_lo, v4, 1
	v_add_co_ci_u32_e64 v5, null, 0, v5, vcc_lo
	v_cmp_eq_u32_e32 vcc_lo, 0, v26
	s_waitcnt vmcnt(0)
	v_and_b32_e32 v27, 0xffff, v10
	v_lshlrev_b64 v[27:28], s4, v[27:28]
	s_add_u32 s4, s4, 8
	s_addc_u32 s5, s5, 0
	s_or_b32 s12, vcc_lo, s12
	v_or_b32_e32 v25, v28, v25
	v_or_b32_e32 v24, v27, v24
	s_andn2_b32 exec_lo, exec_lo, s12
	s_cbranch_execnz .LBB4_331
; %bb.332:                              ;   in Loop: Header=BB4_280 Depth=1
	s_or_b32 exec_lo, exec_lo, s12
.LBB4_333:                              ;   in Loop: Header=BB4_280 Depth=1
	s_or_b32 exec_lo, exec_lo, s11
                                        ; implicit-def: $vgpr4_vgpr5
.LBB4_334:                              ;   in Loop: Header=BB4_280 Depth=1
	s_andn2_saveexec_b32 s4, s10
	s_cbranch_execz .LBB4_336
; %bb.335:                              ;   in Loop: Header=BB4_280 Depth=1
	global_load_dwordx2 v[24:25], v[4:5], off
.LBB4_336:                              ;   in Loop: Header=BB4_280 Depth=1
	s_or_b32 exec_lo, exec_lo, s4
	v_readfirstlane_b32 s4, v36
	v_mov_b32_e32 v4, 0
	v_mov_b32_e32 v5, 0
	v_cmp_eq_u32_e64 s4, s4, v36
	s_and_saveexec_b32 s5, s4
	s_cbranch_execz .LBB4_342
; %bb.337:                              ;   in Loop: Header=BB4_280 Depth=1
	global_load_dwordx2 v[28:29], v11, s[6:7] offset:24 glc dlc
	s_waitcnt vmcnt(0)
	buffer_gl1_inv
	buffer_gl0_inv
	s_clause 0x1
	global_load_dwordx2 v[4:5], v11, s[6:7] offset:40
	global_load_dwordx2 v[26:27], v11, s[6:7]
	s_mov_b32 s10, exec_lo
	s_waitcnt vmcnt(1)
	v_and_b32_e32 v5, v5, v29
	v_and_b32_e32 v4, v4, v28
	v_mul_lo_u32 v5, v5, 24
	v_mul_hi_u32 v10, v4, 24
	v_mul_lo_u32 v4, v4, 24
	v_add_nc_u32_e32 v5, v10, v5
	s_waitcnt vmcnt(0)
	v_add_co_u32 v4, vcc_lo, v26, v4
	v_add_co_ci_u32_e64 v5, null, v27, v5, vcc_lo
	global_load_dwordx2 v[26:27], v[4:5], off glc dlc
	s_waitcnt vmcnt(0)
	global_atomic_cmpswap_x2 v[4:5], v11, v[26:29], s[6:7] offset:24 glc
	s_waitcnt vmcnt(0)
	buffer_gl1_inv
	buffer_gl0_inv
	v_cmpx_ne_u64_e64 v[4:5], v[28:29]
	s_cbranch_execz .LBB4_341
; %bb.338:                              ;   in Loop: Header=BB4_280 Depth=1
	s_mov_b32 s11, 0
	.p2align	6
.LBB4_339:                              ;   Parent Loop BB4_280 Depth=1
                                        ; =>  This Inner Loop Header: Depth=2
	s_sleep 1
	s_clause 0x1
	global_load_dwordx2 v[26:27], v11, s[6:7] offset:40
	global_load_dwordx2 v[38:39], v11, s[6:7]
	v_mov_b32_e32 v29, v5
	v_mov_b32_e32 v28, v4
	s_waitcnt vmcnt(1)
	v_and_b32_e32 v4, v26, v28
	v_and_b32_e32 v10, v27, v29
	s_waitcnt vmcnt(0)
	v_mad_u64_u32 v[4:5], null, v4, 24, v[38:39]
	v_mad_u64_u32 v[26:27], null, v10, 24, v[5:6]
	v_mov_b32_e32 v5, v26
	global_load_dwordx2 v[26:27], v[4:5], off glc dlc
	s_waitcnt vmcnt(0)
	global_atomic_cmpswap_x2 v[4:5], v11, v[26:29], s[6:7] offset:24 glc
	s_waitcnt vmcnt(0)
	buffer_gl1_inv
	buffer_gl0_inv
	v_cmp_eq_u64_e32 vcc_lo, v[4:5], v[28:29]
	s_or_b32 s11, vcc_lo, s11
	s_andn2_b32 exec_lo, exec_lo, s11
	s_cbranch_execnz .LBB4_339
; %bb.340:                              ;   in Loop: Header=BB4_280 Depth=1
	s_or_b32 exec_lo, exec_lo, s11
.LBB4_341:                              ;   in Loop: Header=BB4_280 Depth=1
	s_or_b32 exec_lo, exec_lo, s10
.LBB4_342:                              ;   in Loop: Header=BB4_280 Depth=1
	s_or_b32 exec_lo, exec_lo, s5
	s_clause 0x1
	global_load_dwordx2 v[38:39], v11, s[6:7] offset:40
	global_load_dwordx4 v[26:29], v11, s[6:7]
	v_readfirstlane_b32 s11, v5
	v_readfirstlane_b32 s10, v4
	s_mov_b32 s5, exec_lo
	s_waitcnt vmcnt(1)
	v_readfirstlane_b32 s12, v38
	v_readfirstlane_b32 s13, v39
	s_and_b64 s[12:13], s[12:13], s[10:11]
	s_mul_i32 s17, s13, 24
	s_mul_hi_u32 s18, s12, 24
	s_mul_i32 s19, s12, 24
	s_add_i32 s18, s18, s17
	s_waitcnt vmcnt(0)
	v_add_co_u32 v4, vcc_lo, v26, s19
	v_add_co_ci_u32_e64 v5, null, s18, v27, vcc_lo
	s_and_saveexec_b32 s17, s4
	s_cbranch_execz .LBB4_344
; %bb.343:                              ;   in Loop: Header=BB4_280 Depth=1
	v_mov_b32_e32 v10, s5
	global_store_dwordx4 v[4:5], v[10:13], off offset:8
.LBB4_344:                              ;   in Loop: Header=BB4_280 Depth=1
	s_or_b32 exec_lo, exec_lo, s17
	v_cmp_gt_u64_e32 vcc_lo, 57, v[30:31]
	s_lshl_b64 s[12:13], s[12:13], 12
	v_and_b32_e32 v0, 0xffffff1f, v0
	v_lshl_add_u32 v35, v32, 2, 28
	v_cndmask_b32_e32 v10, 0, v34, vcc_lo
	v_add_co_u32 v28, vcc_lo, v28, s12
	v_add_co_ci_u32_e64 v29, null, s13, v29, vcc_lo
	v_or_b32_e32 v0, v0, v10
	v_readfirstlane_b32 s12, v28
	v_readfirstlane_b32 s13, v29
	v_and_or_b32 v0, 0x1e0, v35, v0
	global_store_dwordx4 v37, v[14:17], s[12:13] offset:16
	global_store_dwordx4 v37, v[18:21], s[12:13] offset:32
	global_store_dwordx4 v37, v[0:3], s[12:13]
	global_store_dwordx4 v37, v[22:25], s[12:13] offset:48
	s_and_saveexec_b32 s5, s4
	s_cbranch_execz .LBB4_352
; %bb.345:                              ;   in Loop: Header=BB4_280 Depth=1
	s_clause 0x1
	global_load_dwordx2 v[18:19], v11, s[6:7] offset:32 glc dlc
	global_load_dwordx2 v[0:1], v11, s[6:7] offset:40
	v_mov_b32_e32 v16, s10
	v_mov_b32_e32 v17, s11
	s_waitcnt vmcnt(0)
	v_readfirstlane_b32 s12, v0
	v_readfirstlane_b32 s13, v1
	s_and_b64 s[12:13], s[12:13], s[10:11]
	s_mul_i32 s13, s13, 24
	s_mul_hi_u32 s17, s12, 24
	s_mul_i32 s12, s12, 24
	s_add_i32 s17, s17, s13
	v_add_co_u32 v14, vcc_lo, v26, s12
	v_add_co_ci_u32_e64 v15, null, s17, v27, vcc_lo
	s_mov_b32 s12, exec_lo
	global_store_dwordx2 v[14:15], v[18:19], off
	s_waitcnt_vscnt null, 0x0
	global_atomic_cmpswap_x2 v[2:3], v11, v[16:19], s[6:7] offset:32 glc
	s_waitcnt vmcnt(0)
	v_cmpx_ne_u64_e64 v[2:3], v[18:19]
	s_cbranch_execz .LBB4_348
; %bb.346:                              ;   in Loop: Header=BB4_280 Depth=1
	s_mov_b32 s13, 0
.LBB4_347:                              ;   Parent Loop BB4_280 Depth=1
                                        ; =>  This Inner Loop Header: Depth=2
	v_mov_b32_e32 v0, s10
	v_mov_b32_e32 v1, s11
	s_sleep 1
	global_store_dwordx2 v[14:15], v[2:3], off
	s_waitcnt_vscnt null, 0x0
	global_atomic_cmpswap_x2 v[0:1], v11, v[0:3], s[6:7] offset:32 glc
	s_waitcnt vmcnt(0)
	v_cmp_eq_u64_e32 vcc_lo, v[0:1], v[2:3]
	v_mov_b32_e32 v3, v1
	v_mov_b32_e32 v2, v0
	s_or_b32 s13, vcc_lo, s13
	s_andn2_b32 exec_lo, exec_lo, s13
	s_cbranch_execnz .LBB4_347
.LBB4_348:                              ;   in Loop: Header=BB4_280 Depth=1
	s_or_b32 exec_lo, exec_lo, s12
	global_load_dwordx2 v[0:1], v11, s[6:7] offset:16
	s_mov_b32 s13, exec_lo
	s_mov_b32 s12, exec_lo
	v_mbcnt_lo_u32_b32 v2, s13, 0
	v_cmpx_eq_u32_e32 0, v2
	s_cbranch_execz .LBB4_350
; %bb.349:                              ;   in Loop: Header=BB4_280 Depth=1
	s_bcnt1_i32_b32 s13, s13
	v_mov_b32_e32 v10, s13
	s_waitcnt vmcnt(0)
	global_atomic_add_x2 v[0:1], v[10:11], off offset:8
.LBB4_350:                              ;   in Loop: Header=BB4_280 Depth=1
	s_or_b32 exec_lo, exec_lo, s12
	s_waitcnt vmcnt(0)
	global_load_dwordx2 v[2:3], v[0:1], off offset:16
	s_waitcnt vmcnt(0)
	v_cmp_eq_u64_e32 vcc_lo, 0, v[2:3]
	s_cbranch_vccnz .LBB4_352
; %bb.351:                              ;   in Loop: Header=BB4_280 Depth=1
	global_load_dword v10, v[0:1], off offset:24
	s_waitcnt vmcnt(0)
	v_readfirstlane_b32 s12, v10
	s_waitcnt_vscnt null, 0x0
	global_store_dwordx2 v[2:3], v[10:11], off
	s_and_b32 m0, s12, 0x7fffff
	s_sendmsg sendmsg(MSG_INTERRUPT)
.LBB4_352:                              ;   in Loop: Header=BB4_280 Depth=1
	s_or_b32 exec_lo, exec_lo, s5
	v_add_co_u32 v0, vcc_lo, v28, v37
	v_add_co_ci_u32_e64 v1, null, 0, v29, vcc_lo
	s_branch .LBB4_356
	.p2align	6
.LBB4_353:                              ;   in Loop: Header=BB4_356 Depth=2
	s_or_b32 exec_lo, exec_lo, s5
	v_readfirstlane_b32 s5, v2
	s_cmp_eq_u32 s5, 0
	s_cbranch_scc1 .LBB4_355
; %bb.354:                              ;   in Loop: Header=BB4_356 Depth=2
	s_sleep 1
	s_cbranch_execnz .LBB4_356
	s_branch .LBB4_358
	.p2align	6
.LBB4_355:                              ;   in Loop: Header=BB4_280 Depth=1
	s_branch .LBB4_358
.LBB4_356:                              ;   Parent Loop BB4_280 Depth=1
                                        ; =>  This Inner Loop Header: Depth=2
	v_mov_b32_e32 v2, 1
	s_and_saveexec_b32 s5, s4
	s_cbranch_execz .LBB4_353
; %bb.357:                              ;   in Loop: Header=BB4_356 Depth=2
	global_load_dword v2, v[4:5], off offset:20 glc dlc
	s_waitcnt vmcnt(0)
	buffer_gl1_inv
	buffer_gl0_inv
	v_and_b32_e32 v2, 1, v2
	s_branch .LBB4_353
.LBB4_358:                              ;   in Loop: Header=BB4_280 Depth=1
	global_load_dwordx2 v[0:1], v[0:1], off
	s_and_saveexec_b32 s12, s4
	s_cbranch_execz .LBB4_279
; %bb.359:                              ;   in Loop: Header=BB4_280 Depth=1
	s_clause 0x2
	global_load_dwordx2 v[2:3], v11, s[6:7] offset:40
	global_load_dwordx2 v[18:19], v11, s[6:7] offset:24 glc dlc
	global_load_dwordx2 v[4:5], v11, s[6:7]
	s_waitcnt vmcnt(2)
	v_readfirstlane_b32 s18, v2
	v_readfirstlane_b32 s19, v3
	s_add_u32 s13, s18, 1
	s_addc_u32 s17, s19, 0
	s_add_u32 s4, s13, s10
	s_addc_u32 s5, s17, s11
	s_cmp_eq_u64 s[4:5], 0
	s_cselect_b32 s5, s17, s5
	s_cselect_b32 s4, s13, s4
	v_mov_b32_e32 v17, s5
	s_and_b64 s[10:11], s[4:5], s[18:19]
	v_mov_b32_e32 v16, s4
	s_mul_i32 s11, s11, 24
	s_mul_hi_u32 s13, s10, 24
	s_mul_i32 s10, s10, 24
	s_add_i32 s13, s13, s11
	s_waitcnt vmcnt(0)
	v_add_co_u32 v14, vcc_lo, v4, s10
	v_add_co_ci_u32_e64 v15, null, s13, v5, vcc_lo
	global_store_dwordx2 v[14:15], v[18:19], off
	s_waitcnt_vscnt null, 0x0
	global_atomic_cmpswap_x2 v[4:5], v11, v[16:19], s[6:7] offset:24 glc
	s_waitcnt vmcnt(0)
	v_cmp_ne_u64_e32 vcc_lo, v[4:5], v[18:19]
	s_and_b32 exec_lo, exec_lo, vcc_lo
	s_cbranch_execz .LBB4_279
; %bb.360:                              ;   in Loop: Header=BB4_280 Depth=1
	s_mov_b32 s10, 0
.LBB4_361:                              ;   Parent Loop BB4_280 Depth=1
                                        ; =>  This Inner Loop Header: Depth=2
	v_mov_b32_e32 v2, s4
	v_mov_b32_e32 v3, s5
	s_sleep 1
	global_store_dwordx2 v[14:15], v[4:5], off
	s_waitcnt_vscnt null, 0x0
	global_atomic_cmpswap_x2 v[2:3], v11, v[2:5], s[6:7] offset:24 glc
	s_waitcnt vmcnt(0)
	v_cmp_eq_u64_e32 vcc_lo, v[2:3], v[4:5]
	v_mov_b32_e32 v5, v3
	v_mov_b32_e32 v4, v2
	s_or_b32 s10, vcc_lo, s10
	s_andn2_b32 exec_lo, exec_lo, s10
	s_cbranch_execnz .LBB4_361
	s_branch .LBB4_279
.LBB4_362:
	s_or_b32 exec_lo, exec_lo, s15
                                        ; implicit-def: $vgpr37
                                        ; implicit-def: $vgpr36
.LBB4_363:
	s_andn2_saveexec_b32 s14, s14
	s_cbranch_execz .LBB4_391
; %bb.364:
	v_readfirstlane_b32 s4, v36
	v_mov_b32_e32 v10, 0
	v_mov_b32_e32 v11, 0
	v_cmp_eq_u32_e64 s4, s4, v36
	s_and_saveexec_b32 s5, s4
	s_cbranch_execz .LBB4_370
; %bb.365:
	v_mov_b32_e32 v2, 0
	s_mov_b32 s10, exec_lo
	global_load_dwordx2 v[5:6], v2, s[6:7] offset:24 glc dlc
	s_waitcnt vmcnt(0)
	buffer_gl1_inv
	buffer_gl0_inv
	s_clause 0x1
	global_load_dwordx2 v[3:4], v2, s[6:7] offset:40
	global_load_dwordx2 v[10:11], v2, s[6:7]
	s_waitcnt vmcnt(1)
	v_and_b32_e32 v4, v4, v6
	v_and_b32_e32 v3, v3, v5
	v_mul_lo_u32 v4, v4, 24
	v_mul_hi_u32 v7, v3, 24
	v_mul_lo_u32 v3, v3, 24
	v_add_nc_u32_e32 v4, v7, v4
	s_waitcnt vmcnt(0)
	v_add_co_u32 v3, vcc_lo, v10, v3
	v_add_co_ci_u32_e64 v4, null, v11, v4, vcc_lo
	global_load_dwordx2 v[3:4], v[3:4], off glc dlc
	s_waitcnt vmcnt(0)
	global_atomic_cmpswap_x2 v[10:11], v2, v[3:6], s[6:7] offset:24 glc
	s_waitcnt vmcnt(0)
	buffer_gl1_inv
	buffer_gl0_inv
	v_cmpx_ne_u64_e64 v[10:11], v[5:6]
	s_cbranch_execz .LBB4_369
; %bb.366:
	s_mov_b32 s11, 0
	.p2align	6
.LBB4_367:                              ; =>This Inner Loop Header: Depth=1
	s_sleep 1
	s_clause 0x1
	global_load_dwordx2 v[3:4], v2, s[6:7] offset:40
	global_load_dwordx2 v[12:13], v2, s[6:7]
	v_mov_b32_e32 v5, v10
	v_mov_b32_e32 v6, v11
	s_waitcnt vmcnt(1)
	v_and_b32_e32 v3, v3, v5
	v_and_b32_e32 v4, v4, v6
	s_waitcnt vmcnt(0)
	v_mad_u64_u32 v[10:11], null, v3, 24, v[12:13]
	v_mov_b32_e32 v3, v11
	v_mad_u64_u32 v[3:4], null, v4, 24, v[3:4]
	v_mov_b32_e32 v11, v3
	global_load_dwordx2 v[3:4], v[10:11], off glc dlc
	s_waitcnt vmcnt(0)
	global_atomic_cmpswap_x2 v[10:11], v2, v[3:6], s[6:7] offset:24 glc
	s_waitcnt vmcnt(0)
	buffer_gl1_inv
	buffer_gl0_inv
	v_cmp_eq_u64_e32 vcc_lo, v[10:11], v[5:6]
	s_or_b32 s11, vcc_lo, s11
	s_andn2_b32 exec_lo, exec_lo, s11
	s_cbranch_execnz .LBB4_367
; %bb.368:
	s_or_b32 exec_lo, exec_lo, s11
.LBB4_369:
	s_or_b32 exec_lo, exec_lo, s10
.LBB4_370:
	s_or_b32 exec_lo, exec_lo, s5
	v_mov_b32_e32 v2, 0
	v_readfirstlane_b32 s11, v11
	v_readfirstlane_b32 s10, v10
	s_mov_b32 s5, exec_lo
	s_clause 0x1
	global_load_dwordx2 v[12:13], v2, s[6:7] offset:40
	global_load_dwordx4 v[4:7], v2, s[6:7]
	s_waitcnt vmcnt(1)
	v_readfirstlane_b32 s12, v12
	v_readfirstlane_b32 s13, v13
	s_and_b64 s[12:13], s[12:13], s[10:11]
	s_mul_i32 s15, s13, 24
	s_mul_hi_u32 s16, s12, 24
	s_mul_i32 s17, s12, 24
	s_add_i32 s16, s16, s15
	s_waitcnt vmcnt(0)
	v_add_co_u32 v10, vcc_lo, v4, s17
	v_add_co_ci_u32_e64 v11, null, s16, v5, vcc_lo
	s_and_saveexec_b32 s15, s4
	s_cbranch_execz .LBB4_372
; %bb.371:
	v_mov_b32_e32 v12, s5
	v_mov_b32_e32 v13, v2
	;; [unrolled: 1-line block ×4, first 2 shown]
	global_store_dwordx4 v[10:11], v[12:15], off offset:8
.LBB4_372:
	s_or_b32 exec_lo, exec_lo, s15
	s_lshl_b64 s[12:13], s[12:13], 12
	s_mov_b32 s16, 0
	v_add_co_u32 v6, vcc_lo, v6, s12
	v_add_co_ci_u32_e64 v7, null, s13, v7, vcc_lo
	s_mov_b32 s17, s16
	v_readfirstlane_b32 s12, v6
	v_add_co_u32 v6, vcc_lo, v6, v37
	s_mov_b32 s18, s16
	s_mov_b32 s19, s16
	v_and_or_b32 v0, 0xffffff1f, v0, 32
	v_mov_b32_e32 v3, v2
	v_readfirstlane_b32 s13, v7
	v_mov_b32_e32 v12, s16
	v_add_co_ci_u32_e64 v7, null, 0, v7, vcc_lo
	v_mov_b32_e32 v13, s17
	v_mov_b32_e32 v14, s18
	;; [unrolled: 1-line block ×3, first 2 shown]
	global_store_dwordx4 v37, v[0:3], s[12:13]
	global_store_dwordx4 v37, v[12:15], s[12:13] offset:16
	global_store_dwordx4 v37, v[12:15], s[12:13] offset:32
	;; [unrolled: 1-line block ×3, first 2 shown]
	s_and_saveexec_b32 s5, s4
	s_cbranch_execz .LBB4_380
; %bb.373:
	v_mov_b32_e32 v12, 0
	v_mov_b32_e32 v13, s10
	;; [unrolled: 1-line block ×3, first 2 shown]
	s_clause 0x1
	global_load_dwordx2 v[15:16], v12, s[6:7] offset:32 glc dlc
	global_load_dwordx2 v[0:1], v12, s[6:7] offset:40
	s_waitcnt vmcnt(0)
	v_readfirstlane_b32 s12, v0
	v_readfirstlane_b32 s13, v1
	s_and_b64 s[12:13], s[12:13], s[10:11]
	s_mul_i32 s13, s13, 24
	s_mul_hi_u32 s15, s12, 24
	s_mul_i32 s12, s12, 24
	s_add_i32 s15, s15, s13
	v_add_co_u32 v4, vcc_lo, v4, s12
	v_add_co_ci_u32_e64 v5, null, s15, v5, vcc_lo
	s_mov_b32 s12, exec_lo
	global_store_dwordx2 v[4:5], v[15:16], off
	s_waitcnt_vscnt null, 0x0
	global_atomic_cmpswap_x2 v[2:3], v12, v[13:16], s[6:7] offset:32 glc
	s_waitcnt vmcnt(0)
	v_cmpx_ne_u64_e64 v[2:3], v[15:16]
	s_cbranch_execz .LBB4_376
; %bb.374:
	s_mov_b32 s13, 0
.LBB4_375:                              ; =>This Inner Loop Header: Depth=1
	v_mov_b32_e32 v0, s10
	v_mov_b32_e32 v1, s11
	s_sleep 1
	global_store_dwordx2 v[4:5], v[2:3], off
	s_waitcnt_vscnt null, 0x0
	global_atomic_cmpswap_x2 v[0:1], v12, v[0:3], s[6:7] offset:32 glc
	s_waitcnt vmcnt(0)
	v_cmp_eq_u64_e32 vcc_lo, v[0:1], v[2:3]
	v_mov_b32_e32 v3, v1
	v_mov_b32_e32 v2, v0
	s_or_b32 s13, vcc_lo, s13
	s_andn2_b32 exec_lo, exec_lo, s13
	s_cbranch_execnz .LBB4_375
.LBB4_376:
	s_or_b32 exec_lo, exec_lo, s12
	v_mov_b32_e32 v3, 0
	s_mov_b32 s13, exec_lo
	s_mov_b32 s12, exec_lo
	v_mbcnt_lo_u32_b32 v2, s13, 0
	global_load_dwordx2 v[0:1], v3, s[6:7] offset:16
	v_cmpx_eq_u32_e32 0, v2
	s_cbranch_execz .LBB4_378
; %bb.377:
	s_bcnt1_i32_b32 s13, s13
	v_mov_b32_e32 v2, s13
	s_waitcnt vmcnt(0)
	global_atomic_add_x2 v[0:1], v[2:3], off offset:8
.LBB4_378:
	s_or_b32 exec_lo, exec_lo, s12
	s_waitcnt vmcnt(0)
	global_load_dwordx2 v[2:3], v[0:1], off offset:16
	s_waitcnt vmcnt(0)
	v_cmp_eq_u64_e32 vcc_lo, 0, v[2:3]
	s_cbranch_vccnz .LBB4_380
; %bb.379:
	global_load_dword v0, v[0:1], off offset:24
	v_mov_b32_e32 v1, 0
	s_waitcnt vmcnt(0)
	v_readfirstlane_b32 s12, v0
	s_waitcnt_vscnt null, 0x0
	global_store_dwordx2 v[2:3], v[0:1], off
	s_and_b32 m0, s12, 0x7fffff
	s_sendmsg sendmsg(MSG_INTERRUPT)
.LBB4_380:
	s_or_b32 exec_lo, exec_lo, s5
	s_branch .LBB4_384
	.p2align	6
.LBB4_381:                              ;   in Loop: Header=BB4_384 Depth=1
	s_or_b32 exec_lo, exec_lo, s5
	v_readfirstlane_b32 s5, v0
	s_cmp_eq_u32 s5, 0
	s_cbranch_scc1 .LBB4_383
; %bb.382:                              ;   in Loop: Header=BB4_384 Depth=1
	s_sleep 1
	s_cbranch_execnz .LBB4_384
	s_branch .LBB4_386
	.p2align	6
.LBB4_383:
	s_branch .LBB4_386
.LBB4_384:                              ; =>This Inner Loop Header: Depth=1
	v_mov_b32_e32 v0, 1
	s_and_saveexec_b32 s5, s4
	s_cbranch_execz .LBB4_381
; %bb.385:                              ;   in Loop: Header=BB4_384 Depth=1
	global_load_dword v0, v[10:11], off offset:20 glc dlc
	s_waitcnt vmcnt(0)
	buffer_gl1_inv
	buffer_gl0_inv
	v_and_b32_e32 v0, 1, v0
	s_branch .LBB4_381
.LBB4_386:
	global_load_dwordx2 v[0:1], v[6:7], off
	s_and_saveexec_b32 s12, s4
	s_cbranch_execz .LBB4_390
; %bb.387:
	v_mov_b32_e32 v10, 0
	s_clause 0x2
	global_load_dwordx2 v[2:3], v10, s[6:7] offset:40
	global_load_dwordx2 v[13:14], v10, s[6:7] offset:24 glc dlc
	global_load_dwordx2 v[4:5], v10, s[6:7]
	s_waitcnt vmcnt(2)
	v_readfirstlane_b32 s16, v2
	v_readfirstlane_b32 s17, v3
	s_add_u32 s13, s16, 1
	s_addc_u32 s15, s17, 0
	s_add_u32 s4, s13, s10
	s_addc_u32 s5, s15, s11
	s_cmp_eq_u64 s[4:5], 0
	s_cselect_b32 s5, s15, s5
	s_cselect_b32 s4, s13, s4
	v_mov_b32_e32 v12, s5
	s_and_b64 s[10:11], s[4:5], s[16:17]
	v_mov_b32_e32 v11, s4
	s_mul_i32 s11, s11, 24
	s_mul_hi_u32 s13, s10, 24
	s_mul_i32 s10, s10, 24
	s_add_i32 s13, s13, s11
	s_waitcnt vmcnt(0)
	v_add_co_u32 v6, vcc_lo, v4, s10
	v_add_co_ci_u32_e64 v7, null, s13, v5, vcc_lo
	global_store_dwordx2 v[6:7], v[13:14], off
	s_waitcnt_vscnt null, 0x0
	global_atomic_cmpswap_x2 v[4:5], v10, v[11:14], s[6:7] offset:24 glc
	s_waitcnt vmcnt(0)
	v_cmp_ne_u64_e32 vcc_lo, v[4:5], v[13:14]
	s_and_b32 exec_lo, exec_lo, vcc_lo
	s_cbranch_execz .LBB4_390
; %bb.388:
	s_mov_b32 s10, 0
.LBB4_389:                              ; =>This Inner Loop Header: Depth=1
	v_mov_b32_e32 v2, s4
	v_mov_b32_e32 v3, s5
	s_sleep 1
	global_store_dwordx2 v[6:7], v[4:5], off
	s_waitcnt_vscnt null, 0x0
	global_atomic_cmpswap_x2 v[2:3], v10, v[2:5], s[6:7] offset:24 glc
	s_waitcnt vmcnt(0)
	v_cmp_eq_u64_e32 vcc_lo, v[2:3], v[4:5]
	v_mov_b32_e32 v5, v3
	v_mov_b32_e32 v4, v2
	s_or_b32 s10, vcc_lo, s10
	s_andn2_b32 exec_lo, exec_lo, s10
	s_cbranch_execnz .LBB4_389
.LBB4_390:
	s_or_b32 exec_lo, exec_lo, s12
.LBB4_391:
	s_or_b32 exec_lo, exec_lo, s14
	v_mov_b32_e32 v2, v8
	v_mov_b32_e32 v3, v9
	s_mov_b32 s4, 0
.LBB4_392:                              ; =>This Inner Loop Header: Depth=1
	global_load_ubyte v6, v[2:3], off
	v_add_co_u32 v4, vcc_lo, v2, 1
	v_add_co_ci_u32_e64 v5, null, 0, v3, vcc_lo
	v_mov_b32_e32 v2, v4
	v_mov_b32_e32 v3, v5
	s_waitcnt vmcnt(0)
	v_cmp_eq_u16_e32 vcc_lo, 0, v6
	s_or_b32 s4, vcc_lo, s4
	s_andn2_b32 exec_lo, exec_lo, s4
	s_cbranch_execnz .LBB4_392
; %bb.393:
	s_or_b32 exec_lo, exec_lo, s4
	v_sub_nc_u32_e32 v4, v4, v8
	v_mov_b32_e32 v2, v8
	v_mov_b32_e32 v3, v9
	;; [unrolled: 1-line block ×3, first 2 shown]
	s_getpc_b64 s[4:5]
	s_add_u32 s4, s4, __ockl_fprintf_append_string_n@rel32@lo+4
	s_addc_u32 s5, s5, __ockl_fprintf_append_string_n@rel32@hi+12
	v_ashrrev_i32_e32 v5, 31, v4
	s_swappc_b64 s[30:31], s[4:5]
	s_trap 2
.Lfunc_end4:
	.size	__assert_fail, .Lfunc_end4-__assert_fail
                                        ; -- End function
	.set .L__assert_fail.num_vgpr, max(50, .L__ockl_fprintf_append_string_n.num_vgpr)
	.set .L__assert_fail.num_agpr, max(0, .L__ockl_fprintf_append_string_n.num_agpr)
	.set .L__assert_fail.numbered_sgpr, max(34, .L__ockl_fprintf_append_string_n.numbered_sgpr)
	.set .L__assert_fail.num_named_barrier, max(0, .L__ockl_fprintf_append_string_n.num_named_barrier)
	.set .L__assert_fail.private_seg_size, 64+max(.L__ockl_fprintf_append_string_n.private_seg_size)
	.set .L__assert_fail.uses_vcc, or(1, .L__ockl_fprintf_append_string_n.uses_vcc)
	.set .L__assert_fail.uses_flat_scratch, or(0, .L__ockl_fprintf_append_string_n.uses_flat_scratch)
	.set .L__assert_fail.has_dyn_sized_stack, or(0, .L__ockl_fprintf_append_string_n.has_dyn_sized_stack)
	.set .L__assert_fail.has_recursion, or(0, .L__ockl_fprintf_append_string_n.has_recursion)
	.set .L__assert_fail.has_indirect_call, or(0, .L__ockl_fprintf_append_string_n.has_indirect_call)
	.section	.AMDGPU.csdata,"",@progbits
; Function info:
; codeLenInByte = 15452
; TotalNumSgprs: 36
; NumVgprs: 50
; ScratchSize: 64
; MemoryBound: 0
	.text
	.p2align	2                               ; -- Begin function _Z4EvaliPiiPN2rw7LibraryEi
	.type	_Z4EvaliPiiPN2rw7LibraryEi,@function
_Z4EvaliPiiPN2rw7LibraryEi:             ; @_Z4EvaliPiiPN2rw7LibraryEi
; %bb.0:
	s_waitcnt vmcnt(0) expcnt(0) lgkmcnt(0)
	s_mov_b32 s4, s33
	s_mov_b32 s33, s32
	s_or_saveexec_b32 s5, -1
	buffer_store_dword v61, off, s[0:3], s33 offset:52 ; 4-byte Folded Spill
	s_mov_b32 exec_lo, s5
	v_writelane_b32 v61, s4, 4
	s_addk_i32 s32, 0x800
	buffer_store_dword v40, off, s[0:3], s33 offset:48 ; 4-byte Folded Spill
	buffer_store_dword v41, off, s[0:3], s33 offset:44 ; 4-byte Folded Spill
	;; [unrolled: 1-line block ×12, first 2 shown]
	buffer_store_dword v60, off, s[0:3], s33 ; 4-byte Folded Spill
	v_writelane_b32 v61, s34, 0
	v_writelane_b32 v61, s35, 1
	;; [unrolled: 1-line block ×4, first 2 shown]
	v_mov_b32_e32 v44, v1
	v_ashrrev_i32_e32 v1, 31, v0
	v_mov_b32_e32 v43, v2
	v_mov_b32_e32 v45, v3
	;; [unrolled: 1-line block ×4, first 2 shown]
	v_lshlrev_b64 v[1:2], 2, v[0:1]
	v_mov_b32_e32 v41, v5
	v_mov_b32_e32 v46, 0
	v_add_co_u32 v3, vcc_lo, v44, v1
	v_add_co_ci_u32_e64 v4, null, v43, v2, vcc_lo
	flat_load_dword v1, v[3:4]
	s_waitcnt vmcnt(0) lgkmcnt(0)
	v_cmp_gt_i32_e32 vcc_lo, 0, v1
	v_cmp_ne_u32_e64 s4, v1, v42
	s_and_b32 s4, vcc_lo, s4
	s_and_saveexec_b32 s34, s4
	s_cbranch_execz .LBB5_4
; %bb.1:
	v_mad_i64_i32 v[1:2], null, 0xf0, v45, v[40:41]
	v_mov_b32_e32 v46, 0
	s_mov_b32 s35, 0
	v_add_co_u32 v47, vcc_lo, 0xc4dd0, v1
	v_add_co_ci_u32_e64 v56, null, 0, v2, vcc_lo
	v_add_co_u32 v57, vcc_lo, 0xd1df0, v1
	v_add_co_ci_u32_e64 v58, null, 0, v2, vcc_lo
.LBB5_2:                                ; =>This Inner Loop Header: Depth=1
	v_ashrrev_i32_e32 v1, 31, v0
	flat_store_dword v[3:4], v42
	v_mov_b32_e32 v2, v43
	v_mov_b32_e32 v3, v45
	;; [unrolled: 1-line block ×3, first 2 shown]
	v_lshlrev_b64 v[0:1], 2, v[0:1]
	v_mov_b32_e32 v5, v41
	v_mov_b32_e32 v6, v42
	s_getpc_b64 s[4:5]
	s_add_u32 s4, s4, _Z4EvaliPiiPN2rw7LibraryEi@rel32@lo+4
	s_addc_u32 s5, s5, _Z4EvaliPiiPN2rw7LibraryEi@rel32@hi+12
	v_add_co_u32 v59, vcc_lo, v0, -16
	v_add_co_ci_u32_e64 v60, null, -1, v1, vcc_lo
	v_add_co_u32 v0, vcc_lo, v47, v59
	v_add_co_ci_u32_e64 v1, null, v56, v60, vcc_lo
	flat_load_dword v0, v[0:1]
	v_mov_b32_e32 v1, v44
	s_swappc_b64 s[30:31], s[4:5]
	v_mov_b32_e32 v2, v0
	v_add_co_u32 v0, vcc_lo, v57, v59
	v_add_co_ci_u32_e64 v1, null, v58, v60, vcc_lo
	v_add3_u32 v46, v46, v2, 1
	flat_load_dword v0, v[0:1]
	s_waitcnt vmcnt(0) lgkmcnt(0)
	v_ashrrev_i32_e32 v1, 31, v0
	v_lshlrev_b64 v[3:4], 2, v[0:1]
	v_add_co_u32 v3, vcc_lo, v44, v3
	v_add_co_ci_u32_e64 v4, null, v43, v4, vcc_lo
	flat_load_dword v1, v[3:4]
	s_waitcnt vmcnt(0) lgkmcnt(0)
	v_cmp_lt_i32_e32 vcc_lo, -1, v1
	v_cmp_eq_u32_e64 s4, v1, v42
	s_or_b32 s4, vcc_lo, s4
	s_and_b32 s4, exec_lo, s4
	s_or_b32 s35, s4, s35
	s_andn2_b32 exec_lo, exec_lo, s35
	s_cbranch_execnz .LBB5_2
; %bb.3:
	s_or_b32 exec_lo, exec_lo, s35
.LBB5_4:
	s_or_b32 exec_lo, exec_lo, s34
	v_mov_b32_e32 v0, v46
	s_clause 0xc
	buffer_load_dword v60, off, s[0:3], s33
	buffer_load_dword v59, off, s[0:3], s33 offset:4
	buffer_load_dword v58, off, s[0:3], s33 offset:8
	buffer_load_dword v57, off, s[0:3], s33 offset:12
	buffer_load_dword v56, off, s[0:3], s33 offset:16
	buffer_load_dword v47, off, s[0:3], s33 offset:20
	buffer_load_dword v46, off, s[0:3], s33 offset:24
	buffer_load_dword v45, off, s[0:3], s33 offset:28
	buffer_load_dword v44, off, s[0:3], s33 offset:32
	buffer_load_dword v43, off, s[0:3], s33 offset:36
	buffer_load_dword v42, off, s[0:3], s33 offset:40
	buffer_load_dword v41, off, s[0:3], s33 offset:44
	buffer_load_dword v40, off, s[0:3], s33 offset:48
	v_readlane_b32 s30, v61, 2
	v_readlane_b32 s31, v61, 3
	;; [unrolled: 1-line block ×4, first 2 shown]
	s_mov_b32 s32, s33
	v_readlane_b32 s4, v61, 4
	s_or_saveexec_b32 s5, -1
	buffer_load_dword v61, off, s[0:3], s33 offset:52 ; 4-byte Folded Reload
	s_mov_b32 exec_lo, s5
	s_mov_b32 s33, s4
	s_waitcnt vmcnt(0)
	s_setpc_b64 s[30:31]
.Lfunc_end5:
	.size	_Z4EvaliPiiPN2rw7LibraryEi, .Lfunc_end5-_Z4EvaliPiiPN2rw7LibraryEi
                                        ; -- End function
	.set .L_Z4EvaliPiiPN2rw7LibraryEi.num_vgpr, 62
	.set .L_Z4EvaliPiiPN2rw7LibraryEi.num_agpr, 0
	.set .L_Z4EvaliPiiPN2rw7LibraryEi.numbered_sgpr, 36
	.set .L_Z4EvaliPiiPN2rw7LibraryEi.num_named_barrier, 0
	.set .L_Z4EvaliPiiPN2rw7LibraryEi.private_seg_size, 64
	.set .L_Z4EvaliPiiPN2rw7LibraryEi.uses_vcc, 1
	.set .L_Z4EvaliPiiPN2rw7LibraryEi.uses_flat_scratch, 0
	.set .L_Z4EvaliPiiPN2rw7LibraryEi.has_dyn_sized_stack, 0
	.set .L_Z4EvaliPiiPN2rw7LibraryEi.has_recursion, 1
	.set .L_Z4EvaliPiiPN2rw7LibraryEi.has_indirect_call, 0
	.section	.AMDGPU.csdata,"",@progbits
; Function info:
; codeLenInByte = 740
; TotalNumSgprs: 38
; NumVgprs: 62
; ScratchSize: 64
; MemoryBound: 0
	.text
	.protected	_Z12EvaluateNodeiPiS_S_S_S_S_PN2rw3CutES2_S_PNS0_7LibraryEPNS0_9TableNodeEi ; -- Begin function _Z12EvaluateNodeiPiS_S_S_S_S_PN2rw3CutES2_S_PNS0_7LibraryEPNS0_9TableNodeEi
	.globl	_Z12EvaluateNodeiPiS_S_S_S_S_PN2rw3CutES2_S_PNS0_7LibraryEPNS0_9TableNodeEi
	.p2align	8
	.type	_Z12EvaluateNodeiPiS_S_S_S_S_PN2rw3CutES2_S_PNS0_7LibraryEPNS0_9TableNodeEi,@function
_Z12EvaluateNodeiPiS_S_S_S_S_PN2rw3CutES2_S_PNS0_7LibraryEPNS0_9TableNodeEi: ; @_Z12EvaluateNodeiPiS_S_S_S_S_PN2rw3CutES2_S_PNS0_7LibraryEPNS0_9TableNodeEi
; %bb.0:
	s_add_u32 s6, s6, s9
	s_movk_i32 s32, 0x4000
	s_addc_u32 s7, s7, 0
	s_setreg_b32 hwreg(HW_REG_FLAT_SCR_LO), s6
	s_setreg_b32 hwreg(HW_REG_FLAT_SCR_HI), s7
	s_mov_b64 s[80:81], s[4:5]
	s_load_dword s4, s[4:5], 0x74
	s_load_dword s5, s[80:81], 0x0
	s_add_u32 s0, s0, s9
	s_addc_u32 s1, s1, 0
	s_waitcnt lgkmcnt(0)
	s_and_b32 s4, s4, 0xffff
	v_mad_u64_u32 v[46:47], null, s8, s4, v[0:1]
	s_mov_b32 s4, exec_lo
	v_cmpx_gt_u32_e64 s5, v46
	s_cbranch_execz .LBB6_72
; %bb.1:
	s_clause 0x1
	s_load_dwordx4 s[64:67], s[80:81], 0x48
	s_load_dwordx2 s[52:53], s[80:81], 0x58
                                        ; implicit-def: $vgpr76 : SGPR spill to VGPR lane
	v_add_nc_u32_e32 v44, 1, v46
	v_mov_b32_e32 v62, 0x5f5e0ff
	v_mov_b32_e32 v60, -1
	v_mov_b32_e32 v56, 0
	v_mov_b32_e32 v72, 2
	v_mov_b32_e32 v73, -1
	v_mov_b32_e32 v59, -1
	v_lshlrev_b32_e32 v47, 3, v44
	s_mov_b64 s[68:69], src_private_base
	s_mov_b32 s55, 0
	s_mov_b32 s68, 0x87ffffff
	s_mov_b32 s71, 0
	s_mov_b32 s102, 0
                                        ; implicit-def: $sgpr103
                                        ; implicit-def: $sgpr104
                                        ; implicit-def: $sgpr70
                                        ; implicit-def: $sgpr84
                                        ; implicit-def: $vgpr63
	s_waitcnt lgkmcnt(0)
	s_add_u32 s82, s66, 0x80180
	s_addc_u32 s83, s67, 0
	s_add_u32 s97, s66, 0x80000
	s_addc_u32 s98, s67, 0
	;; [unrolled: 2-line block ×3, first 2 shown]
	v_writelane_b32 v76, s4, 0
	s_add_u32 s99, s66, 0xc0180
	v_writelane_b32 v76, s5, 1
	s_addc_u32 s4, s67, 0
	v_writelane_b32 v76, s4, 2
	s_add_u32 s4, s66, 0xc4dd0
	v_writelane_b32 v76, s4, 3
	s_addc_u32 s4, s67, 0
	;; [unrolled: 4-line block ×6, first 2 shown]
	v_writelane_b32 v76, s4, 12
	s_add_u32 s4, s66, 0xc0870
	s_addc_u32 s5, s67, 0
	v_writelane_b32 v76, s4, 13
	v_writelane_b32 v76, s5, 14
	s_branch .LBB6_3
.LBB6_2:                                ;   in Loop: Header=BB6_3 Depth=1
	s_or_b32 exec_lo, exec_lo, s4
	s_and_b32 s4, exec_lo, s6
	s_or_b32 s71, s4, s71
	s_andn2_b32 s4, s104, exec_lo
	s_and_b32 s5, s84, exec_lo
	s_andn2_b32 s6, s103, exec_lo
	s_and_b32 s7, s70, exec_lo
	s_or_b32 s104, s4, s5
	s_or_b32 s103, s6, s7
	s_andn2_b32 exec_lo, exec_lo, s71
	s_cbranch_execz .LBB6_68
.LBB6_3:                                ; =>This Loop Header: Depth=1
                                        ;     Child Loop BB6_12 Depth 2
                                        ;       Child Loop BB6_25 Depth 3
                                        ;       Child Loop BB6_38 Depth 3
                                        ;     Child Loop BB6_50 Depth 2
	s_load_dwordx16 s[4:19], s[80:81], 0x8
	v_or_b32_e32 v0, s102, v47
	s_waitcnt lgkmcnt(0)
	s_mov_b32 s5, -1
	s_mov_b32 s85, exec_lo
                                        ; implicit-def: $sgpr7
                                        ; implicit-def: $sgpr4
	v_mad_i64_i32 v[40:41], null, v0, 28, s[16:17]
	global_load_ubyte v0, v[40:41], off offset:24
	s_waitcnt vmcnt(0)
	v_cmpx_ne_u16_e32 0, v0
	s_cbranch_execz .LBB6_66
; %bb.4:                                ;   in Loop: Header=BB6_3 Depth=1
	global_load_dword v57, v[40:41], off offset:20
	s_mov_b32 s87, exec_lo
                                        ; implicit-def: $sgpr7
                                        ; implicit-def: $sgpr4
	s_waitcnt vmcnt(0)
	v_bfe_u32 v74, v57, 27, 4
	v_cmp_gt_u32_e64 s86, 3, v74
	v_cmpx_lt_u32_e32 2, v74
	s_cbranch_execz .LBB6_65
; %bb.5:                                ;   in Loop: Header=BB6_3 Depth=1
	s_mov_b32 s4, exec_lo
	v_cmpx_eq_u32_e32 3, v74
	s_cbranch_execz .LBB6_7
; %bb.6:                                ;   in Loop: Header=BB6_3 Depth=1
	v_and_or_b32 v57, v57, s68, 0x20000000
	global_store_dwordx2 v[40:41], v[56:57], off offset:16
.LBB6_7:                                ;   in Loop: Header=BB6_3 Depth=1
	s_or_b32 exec_lo, exec_lo, s4
	s_load_dwordx16 s[8:23], s[80:81], 0x8
	v_mov_b32_e32 v0, v44
	v_mov_b32_e32 v1, v40
	;; [unrolled: 1-line block ×11, first 2 shown]
	s_getpc_b64 s[4:5]
	s_add_u32 s4, s4, _Z8CalcMFFCiPN2rw3CutEPiS2_S2_S2_S2_S2_i@rel32@lo+4
	s_addc_u32 s5, s5, _Z8CalcMFFCiPN2rw3CutEPiS2_S2_S2_S2_S2_i@rel32@hi+12
	buffer_store_dword v56, off, s[0:3], 0 offset:216
	s_waitcnt lgkmcnt(0)
	v_writelane_b32 v76, s8, 15
	v_mov_b32_e32 v3, s10
	v_mov_b32_e32 v4, s11
	v_mov_b32_e32 v5, s12
	v_mov_b32_e32 v6, s13
	v_writelane_b32 v76, s9, 16
	v_writelane_b32 v76, s10, 17
	;; [unrolled: 1-line block ×15, first 2 shown]
	s_swappc_b64 s[30:31], s[4:5]
	v_readlane_b32 s4, v76, 0
	v_lshlrev_b32_sdwa v2, v72, v57 dst_sel:DWORD dst_unused:UNUSED_PAD src0_sel:DWORD src1_sel:WORD_0
	v_readlane_b32 s5, v76, 1
	v_mov_b32_e32 v45, v0
	s_clause 0x1
	global_load_dword v0, v2, s[4:5]
	global_load_dword v42, v2, s[82:83]
	v_readlane_b32 s4, v76, 2
	s_waitcnt vmcnt(1)
	v_ashrrev_i32_e32 v1, 31, v0
	s_waitcnt vmcnt(0)
	v_ashrrev_i32_e32 v43, 31, v42
	v_lshlrev_b64 v[0:1], 4, v[0:1]
	v_add_co_u32 v0, vcc_lo, s97, v0
	v_add_co_ci_u32_e64 v1, null, s98, v1, vcc_lo
	global_load_dwordx4 v[3:6], v[0:1], off
	v_lshlrev_b64 v[0:1], 2, v[42:43]
	v_add_co_u32 v7, vcc_lo, s99, v0
	v_add_co_ci_u32_e64 v8, null, s4, v1, vcc_lo
	v_readlane_b32 s4, v76, 15
	v_readlane_b32 s14, v76, 25
	;; [unrolled: 1-line block ×3, first 2 shown]
	global_load_dword v12, v[7:8], off
	v_readlane_b32 s6, v76, 17
	v_readlane_b32 s7, v76, 18
	v_readlane_b32 s10, v76, 21
	s_mov_b32 s7, -1
	s_mov_b32 s6, -1
	s_mov_b32 s10, exec_lo
	v_readlane_b32 s5, v76, 16
	v_readlane_b32 s8, v76, 19
	;; [unrolled: 1-line block ×10, first 2 shown]
	s_waitcnt vmcnt(1)
	v_ashrrev_i32_e32 v8, 31, v3
	v_mov_b32_e32 v7, v3
	v_ashrrev_i32_e32 v10, 31, v4
	v_mov_b32_e32 v9, v4
	;; [unrolled: 2-line block ×4, first 2 shown]
	v_lshlrev_b64 v[5:6], 2, v[7:8]
	v_lshlrev_b64 v[7:8], 2, v[9:10]
	;; [unrolled: 1-line block ×4, first 2 shown]
	v_add_co_u32 v5, vcc_lo, v40, v5
	v_add_co_ci_u32_e64 v6, null, v41, v6, vcc_lo
	v_add_co_u32 v7, vcc_lo, v40, v7
	v_add_co_ci_u32_e64 v8, null, v41, v8, vcc_lo
	;; [unrolled: 2-line block ×4, first 2 shown]
	s_clause 0x3
	global_load_dword v5, v[5:6], off offset:4
	global_load_dword v7, v[7:8], off offset:4
	;; [unrolled: 1-line block ×4, first 2 shown]
	s_waitcnt vmcnt(3)
	v_ashrrev_i32_e32 v6, 31, v5
	s_waitcnt vmcnt(2)
	v_ashrrev_i32_e32 v8, 31, v7
	s_waitcnt vmcnt(1)
	v_ashrrev_i32_e32 v4, 31, v3
	s_waitcnt vmcnt(0)
	v_ashrrev_i32_e32 v10, 31, v9
	v_lshlrev_b64 v[13:14], 2, v[5:6]
	v_lshlrev_b64 v[15:16], 2, v[7:8]
	;; [unrolled: 1-line block ×4, first 2 shown]
	v_add_co_u32 v13, vcc_lo, s14, v13
	v_add_co_ci_u32_e64 v14, null, s15, v14, vcc_lo
	v_add_co_u32 v15, vcc_lo, s14, v15
	v_add_co_ci_u32_e64 v16, null, s15, v16, vcc_lo
	;; [unrolled: 2-line block ×4, first 2 shown]
	s_clause 0x3
	global_load_dword v4, v[13:14], off
	global_load_dword v6, v[15:16], off
	;; [unrolled: 1-line block ×4, first 2 shown]
	buffer_store_dword v60, off, s[0:3], 0 offset:288
	buffer_store_dword v60, off, s[0:3], 0
	buffer_store_dword v60, off, s[0:3], 0 offset:292
	buffer_store_dword v60, off, s[0:3], 0 offset:4
	;; [unrolled: 1-line block ×106, first 2 shown]
	buffer_store_dword v5, off, s[0:3], 0
	buffer_store_dword v7, off, s[0:3], 0 offset:4
	buffer_store_dword v3, off, s[0:3], 0 offset:8
	;; [unrolled: 1-line block ×3, first 2 shown]
	s_waitcnt vmcnt(3)
	buffer_store_dword v4, off, s[0:3], 0 offset:288
	s_waitcnt vmcnt(2)
	buffer_store_dword v6, off, s[0:3], 0 offset:292
	;; [unrolled: 2-line block ×4, first 2 shown]
	v_cmpx_lt_i32_e32 0, v12
	s_cbranch_execz .LBB6_46
; %bb.8:                                ;   in Loop: Header=BB6_3 Depth=1
	global_load_dword v4, v2, s[66:67]
	buffer_load_dword v13, off, s[0:3], 0 offset:216
	s_getpc_b64 s[4:5]
	s_add_u32 s4, s4, P@rel32@lo+4
	s_addc_u32 s5, s5, P@rel32@hi+12
	v_mad_i64_i32 v[6:7], null, 0xf0, v42, 0
	global_load_dwordx2 v[2:3], v56, s[4:5]
	v_readlane_b32 s4, v76, 3
	v_mov_b32_e32 v5, v56
	s_mov_b32 s11, 0
                                        ; implicit-def: $sgpr12
                                        ; implicit-def: $sgpr13
                                        ; implicit-def: $sgpr14
	s_mov_b32 s54, s11
	v_add_co_u32 v14, vcc_lo, s4, v6
	v_readlane_b32 s4, v76, 4
	v_add_co_ci_u32_e64 v15, null, s4, v7, vcc_lo
	v_readlane_b32 s4, v76, 5
	v_add_co_u32 v16, vcc_lo, s4, v6
	v_readlane_b32 s4, v76, 6
	v_add_co_ci_u32_e64 v17, null, s4, v7, vcc_lo
	v_readlane_b32 s4, v76, 7
	;; [unrolled: 4-line block ×3, first 2 shown]
	v_add_co_u32 v20, vcc_lo, s4, v6
	v_readlane_b32 s4, v76, 10
	v_add_co_ci_u32_e64 v21, null, s4, v7, vcc_lo
	s_waitcnt vmcnt(2)
	v_and_b32_e32 v4, 15, v4
	s_waitcnt vmcnt(1)
	v_cmp_lt_i32_e64 s4, 0, v13
	s_branch .LBB6_12
.LBB6_9:                                ;   in Loop: Header=BB6_12 Depth=2
	s_or_b32 exec_lo, exec_lo, s18
	s_add_i32 s54, s54, 1
	s_xor_b32 s6, exec_lo, -1
	v_cmp_eq_u32_e32 vcc_lo, s54, v12
	s_orn2_b32 s5, vcc_lo, exec_lo
.LBB6_10:                               ;   in Loop: Header=BB6_12 Depth=2
	s_or_b32 exec_lo, exec_lo, s16
	s_andn2_b32 s8, s14, exec_lo
	s_and_b32 s6, s6, exec_lo
	s_andn2_b32 s9, s13, exec_lo
	s_and_b32 s5, s5, exec_lo
	s_or_b32 s14, s8, s6
	s_or_b32 s13, s9, s5
.LBB6_11:                               ;   in Loop: Header=BB6_12 Depth=2
	s_or_b32 exec_lo, exec_lo, s15
	s_xor_b32 s5, s14, -1
	s_and_b32 s6, exec_lo, s13
	s_or_b32 s11, s6, s11
	s_andn2_b32 s6, s12, exec_lo
	s_and_b32 s5, s5, exec_lo
	s_or_b32 s12, s6, s5
	s_andn2_b32 exec_lo, exec_lo, s11
	s_cbranch_execz .LBB6_45
.LBB6_12:                               ;   Parent Loop BB6_3 Depth=1
                                        ; =>  This Loop Header: Depth=2
                                        ;       Child Loop BB6_25 Depth 3
                                        ;       Child Loop BB6_38 Depth 3
	s_lshl_b64 s[8:9], s[54:55], 2
	s_or_b32 s14, s14, exec_lo
	v_add_co_u32 v6, vcc_lo, v14, s8
	v_add_co_ci_u32_e64 v7, null, s9, v15, vcc_lo
	s_or_b32 s13, s13, exec_lo
	s_mov_b32 s15, exec_lo
	global_load_dword v6, v[6:7], off
	s_waitcnt vmcnt(0)
	v_lshl_add_u32 v7, v6, 2, 0x120
	buffer_load_dword v8, v7, s[0:3], 0 offen
	s_waitcnt vmcnt(0)
	v_cmpx_ne_u32_e32 -1, v8
	s_cbranch_execz .LBB6_11
; %bb.13:                               ;   in Loop: Header=BB6_12 Depth=2
	v_add_co_u32 v9, vcc_lo, v16, s8
	v_add_co_ci_u32_e64 v10, null, s9, v17, vcc_lo
	s_mov_b32 s5, -1
	s_mov_b32 s6, -1
	s_mov_b32 s16, exec_lo
	global_load_dword v7, v[9:10], off
	s_waitcnt vmcnt(0)
	v_lshl_add_u32 v9, v7, 2, 0x120
	buffer_load_dword v9, v9, s[0:3], 0 offen
	s_waitcnt vmcnt(0)
	v_cmpx_ne_u32_e32 -1, v9
	s_cbranch_execz .LBB6_10
; %bb.14:                               ;   in Loop: Header=BB6_12 Depth=2
	v_lshl_add_u32 v10, v6, 2, 0
	v_max_i32_e32 v8, v8, v9
	s_lshl_b32 s19, s54, 2
	s_mov_b32 s18, exec_lo
	s_add_i32 s17, s19, 0x120
	buffer_load_dword v22, v10, s[0:3], 0 offen
	v_add_nc_u32_e32 v8, 1, v8
	v_mov_b32_e32 v9, s17
	buffer_store_dword v8, v9, s[0:3], 0 offen offset:16
	s_waitcnt vmcnt(0)
	v_cmpx_ne_u32_e32 -1, v22
	s_cbranch_execz .LBB6_9
; %bb.15:                               ;   in Loop: Header=BB6_12 Depth=2
	v_lshl_add_u32 v8, v7, 2, 0
	v_cmp_ne_u32_e64 s5, v22, v44
	buffer_load_dword v8, v8, s[0:3], 0 offen
	s_waitcnt vmcnt(0)
	v_cmp_ne_u32_e32 vcc_lo, -1, v8
	v_cmp_ne_u32_e64 s6, v8, v44
	s_and_b32 s5, s5, vcc_lo
	s_and_b32 s5, s6, s5
	s_and_b32 exec_lo, exec_lo, s5
	s_cbranch_execz .LBB6_9
; %bb.16:                               ;   in Loop: Header=BB6_12 Depth=2
	v_add_co_u32 v9, vcc_lo, v20, s8
	v_add_co_ci_u32_e64 v10, null, s9, v21, vcc_lo
	v_add_co_u32 v23, vcc_lo, v18, s8
	v_add_co_ci_u32_e64 v24, null, s9, v19, vcc_lo
	s_clause 0x1
	global_load_dword v11, v[9:10], off
	global_load_dword v23, v[23:24], off
	v_lshrrev_b64 v[9:10], v7, v[4:5]
	v_lshrrev_b64 v[6:7], v6, v[4:5]
	v_mov_b32_e32 v25, v8
	s_mov_b32 s5, exec_lo
	v_and_b32_e32 v7, 1, v9
	v_and_b32_e32 v9, 1, v6
	s_waitcnt vmcnt(1)
	v_xor_b32_e32 v6, v11, v7
	s_waitcnt vmcnt(0)
	v_xor_b32_e32 v23, v23, v9
	v_mov_b32_e32 v24, v6
	v_cmpx_gt_i32_e64 v22, v8
; %bb.17:                               ;   in Loop: Header=BB6_12 Depth=2
	v_mov_b32_e32 v24, v23
	v_mov_b32_e32 v23, v6
	;; [unrolled: 1-line block ×4, first 2 shown]
; %bb.18:                               ;   in Loop: Header=BB6_12 Depth=2
	s_or_b32 exec_lo, exec_lo, s5
	global_load_dword v7, v[2:3], off
	v_mul_lo_u32 v6, 0x38f, v23
	v_mul_lo_u32 v8, 0x161, v24
	;; [unrolled: 1-line block ×4, first 2 shown]
	s_mov_b32 s5, exec_lo
	v_xor_b32_e32 v6, v6, v8
	v_xor3_b32 v6, v6, v10, v9
                                        ; implicit-def: $vgpr8_vgpr9
	s_waitcnt vmcnt(0)
	v_readfirstlane_b32 s6, v7
	v_ashrrev_i32_e32 v7, 31, v6
	s_ashr_i32 s9, s6, 31
	v_or_b32_e32 v57, s9, v7
	v_cmpx_ne_u64_e32 0, v[56:57]
	s_xor_b32 s8, exec_lo, s5
	s_cbranch_execz .LBB6_20
; %bb.19:                               ;   in Loop: Header=BB6_12 Depth=2
	v_cvt_f32_u32_e32 v8, s6
	v_cvt_f32_u32_e32 v9, s9
	s_sub_u32 s21, 0, s6
	s_subb_u32 s22, 0, s9
	v_fmac_f32_e32 v8, 0x4f800000, v9
	v_rcp_f32_e32 v8, v8
	v_mul_f32_e32 v8, 0x5f7ffffc, v8
	v_mul_f32_e32 v9, 0x2f800000, v8
	v_trunc_f32_e32 v9, v9
	v_fmac_f32_e32 v8, 0xcf800000, v9
	v_cvt_u32_f32_e32 v9, v9
	v_cvt_u32_f32_e32 v8, v8
	v_readfirstlane_b32 s5, v9
	v_readfirstlane_b32 s20, v8
	s_mul_i32 s23, s21, s5
	s_mul_hi_u32 s25, s21, s20
	s_mul_i32 s24, s22, s20
	s_add_i32 s23, s25, s23
	s_mul_i32 s26, s21, s20
	s_add_i32 s23, s23, s24
	s_mul_hi_u32 s25, s20, s26
	s_mul_i32 s28, s20, s23
	s_mul_hi_u32 s27, s5, s26
	s_mul_i32 s24, s5, s26
	s_mul_hi_u32 s26, s20, s23
	s_add_u32 s25, s25, s28
	s_addc_u32 s26, 0, s26
	s_mul_hi_u32 s29, s5, s23
	s_add_u32 s24, s25, s24
	s_mul_i32 s23, s5, s23
	s_addc_u32 s24, s26, s27
	s_addc_u32 s25, s29, 0
	s_add_u32 s23, s24, s23
	s_addc_u32 s24, 0, s25
	s_add_u32 s20, s20, s23
	s_cselect_b32 s23, -1, 0
	s_mul_hi_u32 s25, s21, s20
	s_cmp_lg_u32 s23, 0
	s_mul_i32 s23, s21, s20
	s_addc_u32 s5, s5, s24
	s_mul_i32 s22, s22, s20
	s_mul_i32 s21, s21, s5
	s_mul_hi_u32 s24, s20, s23
	s_add_i32 s21, s25, s21
	s_mul_hi_u32 s25, s5, s23
	s_add_i32 s21, s21, s22
	s_mul_i32 s22, s5, s23
	s_mul_i32 s27, s20, s21
	s_mul_hi_u32 s26, s20, s21
	s_add_u32 s24, s24, s27
	s_addc_u32 s26, 0, s26
	s_mul_hi_u32 s23, s5, s21
	s_add_u32 s22, s24, s22
	s_mul_i32 s21, s5, s21
	s_addc_u32 s22, s26, s25
	s_addc_u32 s23, s23, 0
	s_add_u32 s21, s22, s21
	s_addc_u32 s22, 0, s23
	s_add_u32 s20, s20, s21
	s_cselect_b32 s21, -1, 0
	v_mul_hi_u32 v28, v6, s20
	s_cmp_lg_u32 s21, 0
	v_mad_u64_u32 v[10:11], null, v7, s20, 0
	s_addc_u32 s5, s5, s22
	v_mad_u64_u32 v[8:9], null, v6, s5, 0
	v_mad_u64_u32 v[26:27], null, v7, s5, 0
	v_add_co_u32 v8, vcc_lo, v28, v8
	v_add_co_ci_u32_e64 v9, null, 0, v9, vcc_lo
	v_add_co_u32 v8, vcc_lo, v8, v10
	v_add_co_ci_u32_e32 v8, vcc_lo, v9, v11, vcc_lo
	v_add_co_ci_u32_e32 v9, vcc_lo, 0, v27, vcc_lo
	v_add_co_u32 v8, vcc_lo, v8, v26
	v_add_co_ci_u32_e64 v10, null, 0, v9, vcc_lo
	v_mul_lo_u32 v11, s9, v8
	v_mad_u64_u32 v[8:9], null, s6, v8, 0
	v_mul_lo_u32 v10, s6, v10
	v_sub_co_u32 v6, vcc_lo, v6, v8
	v_add3_u32 v9, v9, v10, v11
	v_cmp_le_u32_e64 s5, s6, v6
	v_sub_nc_u32_e32 v10, v7, v9
	v_sub_co_ci_u32_e64 v7, null, v7, v9, vcc_lo
	v_cndmask_b32_e64 v11, 0, -1, s5
	v_subrev_co_ci_u32_e64 v8, null, s9, v10, vcc_lo
	v_sub_co_u32 v9, vcc_lo, v6, s6
	v_subrev_co_ci_u32_e64 v10, null, 0, v8, vcc_lo
	v_cmp_le_u32_e64 s5, s6, v9
	v_subrev_co_ci_u32_e64 v8, null, s9, v8, vcc_lo
	v_cmp_le_u32_e32 vcc_lo, s9, v7
	v_cndmask_b32_e64 v26, 0, -1, s5
	v_cmp_le_u32_e64 s5, s9, v10
	v_cndmask_b32_e64 v28, 0, -1, vcc_lo
	v_cmp_eq_u32_e32 vcc_lo, s9, v10
	v_cndmask_b32_e64 v27, 0, -1, s5
	v_cmp_eq_u32_e64 s5, s9, v7
	v_cndmask_b32_e32 v26, v27, v26, vcc_lo
	v_sub_co_u32 v27, vcc_lo, v9, s6
	v_subrev_co_ci_u32_e64 v8, null, 0, v8, vcc_lo
	v_cmp_ne_u32_e32 vcc_lo, 0, v26
	v_cndmask_b32_e64 v11, v28, v11, s5
	v_cndmask_b32_e32 v8, v10, v8, vcc_lo
	v_cndmask_b32_e32 v10, v9, v27, vcc_lo
	v_cmp_ne_u32_e32 vcc_lo, 0, v11
	v_cndmask_b32_e32 v9, v7, v8, vcc_lo
	v_cndmask_b32_e32 v8, v6, v10, vcc_lo
                                        ; implicit-def: $vgpr6_vgpr7
.LBB6_20:                               ;   in Loop: Header=BB6_12 Depth=2
	s_andn2_saveexec_b32 s5, s8
	s_cbranch_execz .LBB6_22
; %bb.21:                               ;   in Loop: Header=BB6_12 Depth=2
	v_cvt_f32_u32_e32 v7, s6
	s_sub_i32 s8, 0, s6
	v_mov_b32_e32 v9, v56
	v_rcp_iflag_f32_e32 v7, v7
	v_mul_f32_e32 v7, 0x4f7ffffe, v7
	v_cvt_u32_f32_e32 v7, v7
	v_mul_lo_u32 v8, s8, v7
	v_mul_hi_u32 v8, v7, v8
	v_add_nc_u32_e32 v7, v7, v8
	v_mul_hi_u32 v7, v6, v7
	v_mul_lo_u32 v7, v7, s6
	v_sub_nc_u32_e32 v6, v6, v7
	v_subrev_nc_u32_e32 v7, s6, v6
	v_cmp_le_u32_e32 vcc_lo, s6, v6
	v_cndmask_b32_e32 v6, v6, v7, vcc_lo
	v_subrev_nc_u32_e32 v7, s6, v6
	v_cmp_le_u32_e32 vcc_lo, s6, v6
	v_cndmask_b32_e32 v8, v6, v7, vcc_lo
.LBB6_22:                               ;   in Loop: Header=BB6_12 Depth=2
	s_or_b32 exec_lo, exec_lo, s5
	s_mov_b32 s5, 0
                                        ; implicit-def: $sgpr6
                                        ; implicit-def: $vgpr26
	s_branch .LBB6_25
.LBB6_23:                               ;   in Loop: Header=BB6_25 Depth=3
	s_or_b32 exec_lo, exec_lo, s21
	s_xor_b32 s9, s20, -1
	s_andn2_b32 s6, s6, exec_lo
	s_and_b32 s9, s9, exec_lo
	s_or_b32 s6, s6, s9
.LBB6_24:                               ;   in Loop: Header=BB6_25 Depth=3
	s_or_b32 exec_lo, exec_lo, s8
	v_mov_b32_e32 v26, v6
	s_and_b32 s8, exec_lo, s6
	s_or_b32 s5, s8, s5
	s_andn2_b32 exec_lo, exec_lo, s5
	s_cbranch_execz .LBB6_34
.LBB6_25:                               ;   Parent Loop BB6_3 Depth=1
                                        ;     Parent Loop BB6_12 Depth=2
                                        ; =>    This Inner Loop Header: Depth=3
	v_lshlrev_b64 v[6:7], 3, v[8:9]
	s_or_b32 s6, s6, exec_lo
	s_mov_b32 s8, exec_lo
	v_add_co_u32 v6, vcc_lo, s52, v6
	v_add_co_ci_u32_e64 v7, null, s53, v7, vcc_lo
	global_load_dword v8, v[6:7], off offset:4
	v_mov_b32_e32 v6, -1
	s_waitcnt vmcnt(0)
	v_cmpx_ne_u32_e32 -1, v8
	s_cbranch_execz .LBB6_24
; %bb.26:                               ;   in Loop: Header=BB6_25 Depth=3
	v_ashrrev_i32_e32 v9, 31, v8
	s_load_dwordx16 s[36:51], s[80:81], 0x8
	s_mov_b32 s20, exec_lo
	v_lshlrev_b64 v[6:7], 3, v[8:9]
	v_add_co_u32 v6, vcc_lo, s52, v6
	v_add_co_ci_u32_e64 v7, null, s53, v7, vcc_lo
	global_load_dword v6, v[6:7], off
	s_waitcnt vmcnt(0)
	v_ashrrev_i32_e32 v7, 31, v6
	v_lshlrev_b64 v[10:11], 2, v[6:7]
	s_waitcnt lgkmcnt(0)
	v_add_co_u32 v27, vcc_lo, s38, v10
	v_add_co_ci_u32_e64 v28, null, s39, v11, vcc_lo
	global_load_dword v7, v[27:28], off
	s_waitcnt vmcnt(0)
	v_cmp_ne_u32_e64 s9, v7, v22
	v_cmpx_eq_u32_e64 v7, v22
	s_cbranch_execz .LBB6_32
; %bb.27:                               ;   in Loop: Header=BB6_25 Depth=3
	s_load_dwordx16 s[36:51], s[80:81], 0x8
	s_mov_b32 s22, exec_lo
	s_waitcnt lgkmcnt(0)
	v_add_co_u32 v27, vcc_lo, s40, v10
	v_add_co_ci_u32_e64 v28, null, s41, v11, vcc_lo
	global_load_dword v7, v[27:28], off
	s_waitcnt vmcnt(0)
	v_cmp_ne_u32_e64 s21, v7, v25
	v_cmpx_eq_u32_e64 v7, v25
	s_cbranch_execz .LBB6_31
; %bb.28:                               ;   in Loop: Header=BB6_25 Depth=3
	s_load_dwordx16 s[36:51], s[80:81], 0x8
	s_mov_b32 s24, exec_lo
	s_waitcnt lgkmcnt(0)
	v_add_co_u32 v27, vcc_lo, s42, v10
	v_add_co_ci_u32_e64 v28, null, s43, v11, vcc_lo
	global_load_dword v7, v[27:28], off
	s_waitcnt vmcnt(0)
	v_cmp_ne_u32_e64 s23, v7, v23
	v_cmpx_eq_u32_e64 v7, v23
	s_cbranch_execz .LBB6_30
; %bb.29:                               ;   in Loop: Header=BB6_25 Depth=3
	s_load_dwordx16 s[36:51], s[80:81], 0x8
	s_andn2_b32 s23, s23, exec_lo
	s_waitcnt lgkmcnt(0)
	v_add_co_u32 v10, vcc_lo, s44, v10
	v_add_co_ci_u32_e64 v11, null, s45, v11, vcc_lo
	global_load_dword v7, v[10:11], off
	s_waitcnt vmcnt(0)
	v_cmp_ne_u32_e32 vcc_lo, v7, v24
	s_and_b32 s25, vcc_lo, exec_lo
	s_or_b32 s23, s23, s25
.LBB6_30:                               ;   in Loop: Header=BB6_25 Depth=3
	s_or_b32 exec_lo, exec_lo, s24
	s_andn2_b32 s21, s21, exec_lo
	s_and_b32 s23, s23, exec_lo
	s_or_b32 s21, s21, s23
.LBB6_31:                               ;   in Loop: Header=BB6_25 Depth=3
	s_or_b32 exec_lo, exec_lo, s22
	s_andn2_b32 s9, s9, exec_lo
	s_and_b32 s21, s21, exec_lo
	s_or_b32 s9, s9, s21
.LBB6_32:                               ;   in Loop: Header=BB6_25 Depth=3
	s_or_b32 exec_lo, exec_lo, s20
	s_mov_b32 s20, 0
	s_and_saveexec_b32 s21, s9
	s_cbranch_execz .LBB6_23
; %bb.33:                               ;   in Loop: Header=BB6_25 Depth=3
	v_mov_b32_e32 v6, v26
	s_mov_b32 s20, exec_lo
	s_branch .LBB6_23
.LBB6_34:                               ;   in Loop: Header=BB6_12 Depth=2
	s_or_b32 exec_lo, exec_lo, s5
	v_cmp_ne_u32_e32 vcc_lo, -1, v6
	s_and_b32 exec_lo, exec_lo, vcc_lo
	s_cbranch_execz .LBB6_9
; %bb.35:                               ;   in Loop: Header=BB6_12 Depth=2
	s_mov_b32 s6, -1
	s_and_saveexec_b32 s5, s4
	s_cbranch_execz .LBB6_43
; %bb.36:                               ;   in Loop: Header=BB6_12 Depth=2
	s_movk_i32 s8, 0xe0
	s_mov_b32 s6, 0
	s_mov_b32 s22, 0
                                        ; implicit-def: $sgpr9
                                        ; implicit-def: $sgpr21
                                        ; implicit-def: $sgpr20
	s_inst_prefetch 0x1
	s_branch .LBB6_38
	.p2align	6
.LBB6_37:                               ;   in Loop: Header=BB6_38 Depth=3
	s_or_b32 exec_lo, exec_lo, s24
	s_and_b32 s24, exec_lo, s21
	v_mov_b32_e32 v7, s22
	s_or_b32 s6, s24, s6
	s_andn2_b32 s9, s9, exec_lo
	s_and_b32 s22, s20, exec_lo
	s_or_b32 s9, s9, s22
	s_mov_b32 s22, s23
	s_andn2_b32 exec_lo, exec_lo, s6
	s_cbranch_execz .LBB6_40
.LBB6_38:                               ;   Parent Loop BB6_3 Depth=1
                                        ;     Parent Loop BB6_12 Depth=2
                                        ; =>    This Inner Loop Header: Depth=3
	v_mov_b32_e32 v7, s8
	s_or_b32 s20, s20, exec_lo
	s_or_b32 s21, s21, exec_lo
	s_mov_b32 s24, exec_lo
                                        ; implicit-def: $sgpr23
	buffer_load_dword v7, v7, s[0:3], 0 offen
	s_waitcnt vmcnt(0)
	v_cmpx_ne_u32_e64 v7, v6
	s_cbranch_execz .LBB6_37
; %bb.39:                               ;   in Loop: Header=BB6_38 Depth=3
	s_add_i32 s23, s22, 1
	s_andn2_b32 s21, s21, exec_lo
	v_cmp_eq_u32_e32 vcc_lo, s23, v13
	s_add_i32 s8, s8, 4
	s_andn2_b32 s20, s20, exec_lo
	s_and_b32 s25, vcc_lo, exec_lo
	s_or_b32 s21, s21, s25
	s_branch .LBB6_37
.LBB6_40:                               ;   in Loop: Header=BB6_12 Depth=2
	s_inst_prefetch 0x2
	s_or_b32 exec_lo, exec_lo, s6
	s_mov_b32 s6, -1
	s_and_saveexec_b32 s8, s9
	s_xor_b32 s8, exec_lo, s8
	s_cbranch_execz .LBB6_42
; %bb.41:                               ;   in Loop: Header=BB6_12 Depth=2
	v_lshl_add_u32 v7, v7, 2, 0x100
	buffer_load_dword v7, v7, s[0:3], 0 offen
	s_waitcnt vmcnt(0)
	v_cmp_ne_u32_e32 vcc_lo, 0, v7
	s_orn2_b32 s6, vcc_lo, exec_lo
.LBB6_42:                               ;   in Loop: Header=BB6_12 Depth=2
	s_or_b32 exec_lo, exec_lo, s8
	s_orn2_b32 s6, s6, exec_lo
.LBB6_43:                               ;   in Loop: Header=BB6_12 Depth=2
	s_or_b32 exec_lo, exec_lo, s5
	s_and_b32 exec_lo, exec_lo, s6
	s_cbranch_execz .LBB6_9
; %bb.44:                               ;   in Loop: Header=BB6_12 Depth=2
	s_load_dwordx16 s[36:51], s[80:81], 0x8
	v_ashrrev_i32_e32 v7, 31, v6
	v_mov_b32_e32 v9, s17
	v_lshlrev_b64 v[7:8], 2, v[6:7]
	s_waitcnt lgkmcnt(0)
	v_add_co_u32 v7, vcc_lo, s46, v7
	v_add_co_ci_u32_e64 v8, null, s47, v8, vcc_lo
	global_load_dword v7, v[7:8], off
	v_mov_b32_e32 v8, s19
	buffer_store_dword v6, v8, s[0:3], 0 offen offset:16
	s_waitcnt vmcnt(0)
	buffer_store_dword v7, v9, s[0:3], 0 offen offset:16
	s_branch .LBB6_9
.LBB6_45:                               ;   in Loop: Header=BB6_3 Depth=1
	s_or_b32 exec_lo, exec_lo, s11
	s_orn2_b32 s6, s12, exec_lo
.LBB6_46:                               ;   in Loop: Header=BB6_3 Depth=1
	s_or_b32 exec_lo, exec_lo, s10
	s_mov_b32 s4, 0
	s_mov_b32 s5, s86
	s_and_saveexec_b32 s8, s6
	s_xor_b32 s54, exec_lo, s8
	s_cbranch_execz .LBB6_64
; %bb.47:                               ;   in Loop: Header=BB6_3 Depth=1
	v_readlane_b32 s4, v76, 11
	s_mov_b32 s96, exec_lo
	v_add_co_u32 v0, vcc_lo, s4, v0
	v_readlane_b32 s4, v76, 12
	v_add_co_ci_u32_e64 v1, null, s4, v1, vcc_lo
	s_mov_b32 s4, -1
	global_load_dword v75, v[0:1], off
	s_waitcnt vmcnt(0)
	v_cmpx_lt_i32_e32 0, v75
	s_cbranch_execz .LBB6_61
; %bb.48:                               ;   in Loop: Header=BB6_3 Depth=1
	v_readlane_b32 s4, v76, 13
	v_readlane_b32 s5, v76, 14
	s_mov_b32 s38, s99
	s_mov_b32 s37, s98
	;; [unrolled: 1-line block ×3, first 2 shown]
	s_mov_b32 s98, -2
	v_mad_i64_i32 v[57:58], null, 0x50, v42, s[4:5]
	s_mov_b32 s97, 0
	s_mov_b32 s99, 0
                                        ; implicit-def: $sgpr100
	s_branch .LBB6_50
.LBB6_49:                               ;   in Loop: Header=BB6_50 Depth=2
	s_or_b32 exec_lo, exec_lo, s5
	s_xor_b32 s4, s6, -1
	s_and_b32 s5, exec_lo, s101
	s_or_b32 s97, s5, s97
	s_andn2_b32 s5, s100, exec_lo
	s_and_b32 s4, s4, exec_lo
	s_or_b32 s100, s5, s4
	s_andn2_b32 exec_lo, exec_lo, s97
	s_cbranch_execz .LBB6_60
.LBB6_50:                               ;   Parent Loop BB6_3 Depth=1
                                        ; =>  This Inner Loop Header: Depth=2
	global_load_dword v43, v[57:58], off
	s_mov_b32 s101, -1
	s_mov_b32 s4, -1
	s_mov_b32 s68, exec_lo
	s_waitcnt vmcnt(0)
	v_lshl_add_u32 v0, v43, 2, 0
	buffer_load_dword v0, v0, s[0:3], 0 offen
	s_waitcnt vmcnt(0)
	v_cmpx_ne_u32_e64 v0, v44
	s_cbranch_execz .LBB6_58
; %bb.51:                               ;   in Loop: Header=BB6_50 Depth=2
	v_mov_b32_e32 v0, v43
	v_mov_b32_e32 v1, 0
	;; [unrolled: 1-line block ×7, first 2 shown]
	s_getpc_b64 s[4:5]
	s_add_u32 s4, s4, _Z4EvaliPiiPN2rw7LibraryEi@rel32@lo+4
	s_addc_u32 s5, s5, _Z4EvaliPiiPN2rw7LibraryEi@rel32@hi+12
	s_swappc_b64 s[30:31], s[4:5]
	v_lshl_add_u32 v1, v43, 2, 0x120
	s_mov_b32 s4, 0
	s_mov_b32 s5, exec_lo
	buffer_load_dword v1, v1, s[0:3], 0 offen
	s_waitcnt vmcnt(0)
	v_cmpx_ne_u32_e32 -1, v1
	s_cbranch_execz .LBB6_57
; %bb.52:                               ;   in Loop: Header=BB6_50 Depth=2
	s_load_dword s4, s[80:81], 0x60
	v_sub_nc_u32_e32 v0, v45, v0
	v_max_i32_e32 v3, 0, v73
	s_waitcnt lgkmcnt(0)
	v_or_b32_e32 v2, s4, v0
	v_cmp_le_i32_e64 s4, v3, v0
	v_cmp_ne_u32_e32 vcc_lo, 0, v2
	s_and_b32 s4, s4, vcc_lo
	s_and_saveexec_b32 s6, s4
	s_cbranch_execz .LBB6_56
; %bb.53:                               ;   in Loop: Header=BB6_50 Depth=2
	v_cmp_ne_u32_e32 vcc_lo, v0, v73
	v_cmp_lt_i32_e64 s4, v1, v62
	s_or_b32 s7, vcc_lo, s4
	s_and_saveexec_b32 s4, s7
; %bb.54:                               ;   in Loop: Header=BB6_50 Depth=2
	v_mov_b32_e32 v59, s102
	v_mov_b32_e32 v63, s99
	v_mov_b32_e32 v73, v0
	v_mov_b32_e32 v62, v1
; %bb.55:                               ;   in Loop: Header=BB6_50 Depth=2
	s_or_b32 exec_lo, exec_lo, s4
.LBB6_56:                               ;   in Loop: Header=BB6_50 Depth=2
	s_or_b32 exec_lo, exec_lo, s6
	s_mov_b32 s4, exec_lo
.LBB6_57:                               ;   in Loop: Header=BB6_50 Depth=2
	s_or_b32 exec_lo, exec_lo, s5
	s_orn2_b32 s4, s4, exec_lo
.LBB6_58:                               ;   in Loop: Header=BB6_50 Depth=2
	s_or_b32 exec_lo, exec_lo, s68
	s_mov_b32 s6, -1
	s_and_saveexec_b32 s5, s4
	s_cbranch_execz .LBB6_49
; %bb.59:                               ;   in Loop: Header=BB6_50 Depth=2
	s_add_i32 s99, s99, 1
	v_add_co_u32 v57, s4, v57, 4
	v_cmp_eq_u32_e32 vcc_lo, s99, v75
	v_add_co_ci_u32_e64 v58, null, 0, v58, s4
	s_add_i32 s98, s98, -1
	s_xor_b32 s6, exec_lo, -1
	s_orn2_b32 s101, vcc_lo, exec_lo
	s_branch .LBB6_49
.LBB6_60:                               ;   in Loop: Header=BB6_3 Depth=1
	s_or_b32 exec_lo, exec_lo, s97
	s_orn2_b32 s4, s100, exec_lo
	s_mov_b32 s68, 0x87ffffff
	s_mov_b32 s97, s36
	;; [unrolled: 1-line block ×4, first 2 shown]
.LBB6_61:                               ;   in Loop: Header=BB6_3 Depth=1
	s_or_b32 exec_lo, exec_lo, s96
	s_mov_b32 s5, s86
	s_and_saveexec_b32 s6, s4
	s_cbranch_execz .LBB6_63
; %bb.62:                               ;   in Loop: Header=BB6_3 Depth=1
	global_load_dword v0, v[40:41], off offset:20
	v_lshlrev_b32_e32 v1, 27, v74
	s_or_b32 s5, s86, exec_lo
	s_waitcnt vmcnt(0)
	v_and_or_b32 v0, 0x87ffffff, v0, v1
	global_store_dword v[40:41], v0, off offset:20
.LBB6_63:                               ;   in Loop: Header=BB6_3 Depth=1
	s_or_b32 exec_lo, exec_lo, s6
	s_andn2_b32 s6, s86, exec_lo
	s_and_b32 s5, s5, exec_lo
	s_mov_b32 s4, exec_lo
	s_xor_b32 s7, exec_lo, -1
	s_or_b32 s5, s6, s5
.LBB6_64:                               ;   in Loop: Header=BB6_3 Depth=1
	s_or_b32 exec_lo, exec_lo, s54
	s_andn2_b32 s6, s86, exec_lo
	s_and_b32 s5, s5, exec_lo
	s_or_b32 s86, s6, s5
.LBB6_65:                               ;   in Loop: Header=BB6_3 Depth=1
	s_or_b32 exec_lo, exec_lo, s87
	s_orn2_b32 s5, s86, exec_lo
.LBB6_66:                               ;   in Loop: Header=BB6_3 Depth=1
	s_or_b32 exec_lo, exec_lo, s85
	s_andn2_b32 s8, s84, exec_lo
	s_and_b32 s4, s4, exec_lo
	s_andn2_b32 s9, s70, exec_lo
	s_and_b32 s7, s7, exec_lo
	s_mov_b32 s6, -1
	s_or_b32 s84, s8, s4
	s_or_b32 s70, s9, s7
	s_and_saveexec_b32 s4, s5
	s_cbranch_execz .LBB6_2
; %bb.67:                               ;   in Loop: Header=BB6_3 Depth=1
	s_add_i32 s102, s102, 1
	s_cmp_eq_u32 s102, 8
	s_cselect_b32 s5, -1, 0
	s_andn2_b32 s84, s84, exec_lo
	s_andn2_b32 s70, s70, exec_lo
	s_orn2_b32 s6, s5, exec_lo
	s_branch .LBB6_2
.LBB6_68:
	s_or_b32 exec_lo, exec_lo, s71
	s_xor_b32 s4, s104, -1
	s_xor_b32 s5, s103, -1
	s_mov_b32 s26, 0
	s_and_saveexec_b32 s6, s5
	s_xor_b32 s25, exec_lo, s6
	s_cbranch_execnz .LBB6_73
; %bb.69:
	s_andn2_saveexec_b32 s25, s25
	s_cbranch_execnz .LBB6_82
.LBB6_70:
	s_or_b32 exec_lo, exec_lo, s25
	s_and_b32 exec_lo, exec_lo, s26
.LBB6_71:
	; divergent unreachable
.LBB6_72:
	s_endpgm
.LBB6_73:
	s_and_saveexec_b32 s5, s4
	s_xor_b32 s4, exec_lo, s5
	s_cbranch_execz .LBB6_79
; %bb.74:
	s_mov_b32 s5, exec_lo
	v_cmpx_ne_u32_e32 -1, v59
	s_xor_b32 s5, exec_lo, s5
	s_cbranch_execz .LBB6_76
; %bb.75:
	s_load_dwordx16 s[8:23], s[80:81], 0x8
	v_add_nc_u32_e32 v0, v59, v47
	v_ashrrev_i32_e32 v47, 31, v46
	v_mov_b32_e32 v12, 1
	v_lshlrev_b64 v[8:9], 2, v[46:47]
	s_waitcnt lgkmcnt(0)
	v_mad_i64_i32 v[4:5], null, v0, 28, s[20:21]
	v_mad_i64_i32 v[10:11], null, v46, 28, s[22:23]
	v_add_co_u32 v8, vcc_lo, s8, v8
	v_add_co_ci_u32_e64 v9, null, s9, v9, vcc_lo
	s_clause 0x1
	global_load_dwordx4 v[0:3], v[4:5], off offset:12
	global_load_dwordx4 v[4:7], v[4:5], off
                                        ; implicit-def: $vgpr46_vgpr47
	s_waitcnt vmcnt(1)
	global_store_dwordx4 v[10:11], v[0:3], off offset:40
	s_waitcnt vmcnt(0)
	global_store_dwordx4 v[10:11], v[4:7], off offset:28
	global_store_byte v[10:11], v12, off offset:52
	global_store_dword v[8:9], v63, off offset:4
.LBB6_76:
	s_andn2_saveexec_b32 s5, s5
	s_cbranch_execz .LBB6_78
; %bb.77:
	s_load_dwordx16 s[8:23], s[80:81], 0x8
	v_mov_b32_e32 v2, 0
	s_waitcnt lgkmcnt(0)
	v_mad_i64_i32 v[0:1], null, v46, 28, s[22:23]
	global_store_byte v[0:1], v2, off offset:52
.LBB6_78:
	s_or_b32 exec_lo, exec_lo, s5
.LBB6_79:
	s_or_saveexec_b32 s26, s4
	s_mov_b32 s4, 0
	s_xor_b32 exec_lo, exec_lo, s26
	s_cbranch_execz .LBB6_81
; %bb.80:
	s_add_u32 s8, s80, 0x68
	s_addc_u32 s9, s81, 0
	s_getpc_b64 s[4:5]
	s_add_u32 s4, s4, .str.2@rel32@lo+4
	s_addc_u32 s5, s5, .str.2@rel32@hi+12
	s_getpc_b64 s[6:7]
	s_add_u32 s6, s6, __PRETTY_FUNCTION__._Z12EvaluateNodeiPiS_S_S_S_S_PN2rw3CutES2_S_PNS0_7LibraryEPNS0_9TableNodeEi@rel32@lo+4
	s_addc_u32 s7, s7, __PRETTY_FUNCTION__._Z12EvaluateNodeiPiS_S_S_S_S_PN2rw3CutES2_S_PNS0_7LibraryEPNS0_9TableNodeEi@rel32@hi+12
	v_mov_b32_e32 v0, s4
	v_mov_b32_e32 v1, s5
	;; [unrolled: 1-line block ×5, first 2 shown]
	s_getpc_b64 s[10:11]
	s_add_u32 s10, s10, __assert_fail@rel32@lo+4
	s_addc_u32 s11, s11, __assert_fail@rel32@hi+12
	s_swappc_b64 s[30:31], s[10:11]
	s_mov_b32 s4, exec_lo
.LBB6_81:
	s_or_b32 exec_lo, exec_lo, s26
	s_and_b32 s26, s4, exec_lo
	s_andn2_saveexec_b32 s25, s25
	s_cbranch_execz .LBB6_70
.LBB6_82:
	s_add_u32 s8, s80, 0x68
	s_addc_u32 s9, s81, 0
	s_getpc_b64 s[4:5]
	s_add_u32 s4, s4, .str@rel32@lo+4
	s_addc_u32 s5, s5, .str@rel32@hi+12
	s_getpc_b64 s[6:7]
	s_add_u32 s6, s6, __PRETTY_FUNCTION__._Z12EvaluateNodeiPiS_S_S_S_S_PN2rw3CutES2_S_PNS0_7LibraryEPNS0_9TableNodeEi@rel32@lo+4
	s_addc_u32 s7, s7, __PRETTY_FUNCTION__._Z12EvaluateNodeiPiS_S_S_S_S_PN2rw3CutES2_S_PNS0_7LibraryEPNS0_9TableNodeEi@rel32@hi+12
	v_mov_b32_e32 v0, s4
	v_mov_b32_e32 v1, s5
	;; [unrolled: 1-line block ×5, first 2 shown]
	s_getpc_b64 s[10:11]
	s_add_u32 s10, s10, __assert_fail@rel32@lo+4
	s_addc_u32 s11, s11, __assert_fail@rel32@hi+12
	s_swappc_b64 s[30:31], s[10:11]
	s_or_b32 s26, s26, exec_lo
	s_or_b32 exec_lo, exec_lo, s25
	s_and_b32 exec_lo, exec_lo, s26
	s_cbranch_execnz .LBB6_71
	s_branch .LBB6_72
	.section	.rodata,"a",@progbits
	.p2align	6, 0x0
	.amdhsa_kernel _Z12EvaluateNodeiPiS_S_S_S_S_PN2rw3CutES2_S_PNS0_7LibraryEPNS0_9TableNodeEi
		.amdhsa_group_segment_fixed_size 0
		.amdhsa_private_segment_fixed_size 608
		.amdhsa_kernarg_size 360
		.amdhsa_user_sgpr_count 8
		.amdhsa_user_sgpr_private_segment_buffer 1
		.amdhsa_user_sgpr_dispatch_ptr 0
		.amdhsa_user_sgpr_queue_ptr 0
		.amdhsa_user_sgpr_kernarg_segment_ptr 1
		.amdhsa_user_sgpr_dispatch_id 0
		.amdhsa_user_sgpr_flat_scratch_init 1
		.amdhsa_user_sgpr_private_segment_size 0
		.amdhsa_wavefront_size32 1
		.amdhsa_uses_dynamic_stack 1
		.amdhsa_system_sgpr_private_segment_wavefront_offset 1
		.amdhsa_system_sgpr_workgroup_id_x 1
		.amdhsa_system_sgpr_workgroup_id_y 0
		.amdhsa_system_sgpr_workgroup_id_z 0
		.amdhsa_system_sgpr_workgroup_info 0
		.amdhsa_system_vgpr_workitem_id 0
		.amdhsa_next_free_vgpr 77
		.amdhsa_next_free_sgpr 105
		.amdhsa_reserve_vcc 1
		.amdhsa_reserve_flat_scratch 1
		.amdhsa_float_round_mode_32 0
		.amdhsa_float_round_mode_16_64 0
		.amdhsa_float_denorm_mode_32 3
		.amdhsa_float_denorm_mode_16_64 3
		.amdhsa_dx10_clamp 1
		.amdhsa_ieee_mode 1
		.amdhsa_fp16_overflow 0
		.amdhsa_workgroup_processor_mode 1
		.amdhsa_memory_ordered 1
		.amdhsa_forward_progress 1
		.amdhsa_shared_vgpr_count 0
		.amdhsa_exception_fp_ieee_invalid_op 0
		.amdhsa_exception_fp_denorm_src 0
		.amdhsa_exception_fp_ieee_div_zero 0
		.amdhsa_exception_fp_ieee_overflow 0
		.amdhsa_exception_fp_ieee_underflow 0
		.amdhsa_exception_fp_ieee_inexact 0
		.amdhsa_exception_int_div_zero 0
	.end_amdhsa_kernel
	.text
.Lfunc_end6:
	.size	_Z12EvaluateNodeiPiS_S_S_S_S_PN2rw3CutES2_S_PNS0_7LibraryEPNS0_9TableNodeEi, .Lfunc_end6-_Z12EvaluateNodeiPiS_S_S_S_S_PN2rw3CutES2_S_PNS0_7LibraryEPNS0_9TableNodeEi
                                        ; -- End function
	.set _Z12EvaluateNodeiPiS_S_S_S_S_PN2rw3CutES2_S_PNS0_7LibraryEPNS0_9TableNodeEi.num_vgpr, max(77, .L_Z8CalcMFFCiPN2rw3CutEPiS2_S2_S2_S2_S2_i.num_vgpr, .L_Z4EvaliPiiPN2rw7LibraryEi.num_vgpr, .L__assert_fail.num_vgpr)
	.set _Z12EvaluateNodeiPiS_S_S_S_S_PN2rw3CutES2_S_PNS0_7LibraryEPNS0_9TableNodeEi.num_agpr, max(0, .L_Z8CalcMFFCiPN2rw3CutEPiS2_S2_S2_S2_S2_i.num_agpr, .L_Z4EvaliPiiPN2rw7LibraryEi.num_agpr, .L__assert_fail.num_agpr)
	.set _Z12EvaluateNodeiPiS_S_S_S_S_PN2rw3CutES2_S_PNS0_7LibraryEPNS0_9TableNodeEi.numbered_sgpr, max(105, .L_Z8CalcMFFCiPN2rw3CutEPiS2_S2_S2_S2_S2_i.numbered_sgpr, .L_Z4EvaliPiiPN2rw7LibraryEi.numbered_sgpr, .L__assert_fail.numbered_sgpr)
	.set _Z12EvaluateNodeiPiS_S_S_S_S_PN2rw3CutES2_S_PNS0_7LibraryEPNS0_9TableNodeEi.num_named_barrier, max(0, .L_Z8CalcMFFCiPN2rw3CutEPiS2_S2_S2_S2_S2_i.num_named_barrier, .L_Z4EvaliPiiPN2rw7LibraryEi.num_named_barrier, .L__assert_fail.num_named_barrier)
	.set _Z12EvaluateNodeiPiS_S_S_S_S_PN2rw3CutES2_S_PNS0_7LibraryEPNS0_9TableNodeEi.private_seg_size, 512+max(.L_Z8CalcMFFCiPN2rw3CutEPiS2_S2_S2_S2_S2_i.private_seg_size, .L_Z4EvaliPiiPN2rw7LibraryEi.private_seg_size, .L__assert_fail.private_seg_size)
	.set _Z12EvaluateNodeiPiS_S_S_S_S_PN2rw3CutES2_S_PNS0_7LibraryEPNS0_9TableNodeEi.uses_vcc, or(1, .L_Z8CalcMFFCiPN2rw3CutEPiS2_S2_S2_S2_S2_i.uses_vcc, .L_Z4EvaliPiiPN2rw7LibraryEi.uses_vcc, .L__assert_fail.uses_vcc)
	.set _Z12EvaluateNodeiPiS_S_S_S_S_PN2rw3CutES2_S_PNS0_7LibraryEPNS0_9TableNodeEi.uses_flat_scratch, or(1, .L_Z8CalcMFFCiPN2rw3CutEPiS2_S2_S2_S2_S2_i.uses_flat_scratch, .L_Z4EvaliPiiPN2rw7LibraryEi.uses_flat_scratch, .L__assert_fail.uses_flat_scratch)
	.set _Z12EvaluateNodeiPiS_S_S_S_S_PN2rw3CutES2_S_PNS0_7LibraryEPNS0_9TableNodeEi.has_dyn_sized_stack, or(0, .L_Z8CalcMFFCiPN2rw3CutEPiS2_S2_S2_S2_S2_i.has_dyn_sized_stack, .L_Z4EvaliPiiPN2rw7LibraryEi.has_dyn_sized_stack, .L__assert_fail.has_dyn_sized_stack)
	.set _Z12EvaluateNodeiPiS_S_S_S_S_PN2rw3CutES2_S_PNS0_7LibraryEPNS0_9TableNodeEi.has_recursion, or(1, .L_Z8CalcMFFCiPN2rw3CutEPiS2_S2_S2_S2_S2_i.has_recursion, .L_Z4EvaliPiiPN2rw7LibraryEi.has_recursion, .L__assert_fail.has_recursion)
	.set _Z12EvaluateNodeiPiS_S_S_S_S_PN2rw3CutES2_S_PNS0_7LibraryEPNS0_9TableNodeEi.has_indirect_call, or(0, .L_Z8CalcMFFCiPN2rw3CutEPiS2_S2_S2_S2_S2_i.has_indirect_call, .L_Z4EvaliPiiPN2rw7LibraryEi.has_indirect_call, .L__assert_fail.has_indirect_call)
	.section	.AMDGPU.csdata,"",@progbits
; Kernel info:
; codeLenInByte = 5876
; TotalNumSgprs: 107
; NumVgprs: 77
; ScratchSize: 608
; MemoryBound: 0
; FloatMode: 240
; IeeeMode: 1
; LDSByteSize: 0 bytes/workgroup (compile time only)
; SGPRBlocks: 0
; VGPRBlocks: 9
; NumSGPRsForWavesPerEU: 107
; NumVGPRsForWavesPerEU: 77
; Occupancy: 12
; WaveLimiterHint : 1
; COMPUTE_PGM_RSRC2:SCRATCH_EN: 1
; COMPUTE_PGM_RSRC2:USER_SGPR: 8
; COMPUTE_PGM_RSRC2:TRAP_HANDLER: 0
; COMPUTE_PGM_RSRC2:TGID_X_EN: 1
; COMPUTE_PGM_RSRC2:TGID_Y_EN: 0
; COMPUTE_PGM_RSRC2:TGID_Z_EN: 0
; COMPUTE_PGM_RSRC2:TIDIG_COMP_CNT: 0
	.text
	.protected	_Z14BuildHashTablePN2rw9TableNodeEiPiS2_S2_S2_ ; -- Begin function _Z14BuildHashTablePN2rw9TableNodeEiPiS2_S2_S2_
	.globl	_Z14BuildHashTablePN2rw9TableNodeEiPiS2_S2_S2_
	.p2align	8
	.type	_Z14BuildHashTablePN2rw9TableNodeEiPiS2_S2_S2_,@function
_Z14BuildHashTablePN2rw9TableNodeEiPiS2_S2_S2_: ; @_Z14BuildHashTablePN2rw9TableNodeEiPiS2_S2_S2_
; %bb.0:
	s_clause 0x1
	s_load_dword s0, s[4:5], 0x3c
	s_load_dword s1, s[4:5], 0x8
	s_waitcnt lgkmcnt(0)
	s_and_b32 s0, s0, 0xffff
	v_mad_u64_u32 v[0:1], null, s6, s0, v[0:1]
	s_mov_b32 s0, exec_lo
	v_cmpx_gt_i32_e64 s1, v0
	s_cbranch_execz .LBB7_8
; %bb.1:
	s_load_dwordx8 s[8:15], s[4:5], 0x10
	v_ashrrev_i32_e32 v1, 31, v0
	v_lshlrev_b64 v[1:2], 2, v[0:1]
	s_waitcnt lgkmcnt(0)
	v_add_co_u32 v3, vcc_lo, s8, v1
	v_add_co_ci_u32_e64 v4, null, s9, v2, vcc_lo
	v_add_co_u32 v5, vcc_lo, s10, v1
	v_add_co_ci_u32_e64 v6, null, s11, v2, vcc_lo
	global_load_dword v3, v[3:4], off offset:4
	global_load_dword v4, v[5:6], off offset:4
	s_waitcnt vmcnt(0)
	v_or_b32_e32 v5, v3, v4
	v_cmp_ne_u32_e32 vcc_lo, 0, v5
	s_and_b32 exec_lo, exec_lo, vcc_lo
	s_cbranch_execz .LBB7_8
; %bb.2:
	v_add_co_u32 v5, vcc_lo, s12, v1
	v_add_co_ci_u32_e64 v6, null, s13, v2, vcc_lo
	v_add_co_u32 v1, vcc_lo, s14, v1
	v_add_co_ci_u32_e64 v2, null, s15, v2, vcc_lo
	global_load_dword v5, v[5:6], off offset:4
	global_load_dword v1, v[1:2], off offset:4
	s_getpc_b64 s[0:1]
	s_add_u32 s0, s0, P@rel32@lo+4
	s_addc_u32 s1, s1, P@rel32@hi+12
	v_mul_lo_u32 v2, 0x1f01, v3
	s_load_dwordx2 s[0:1], s[0:1], 0x0
	v_mul_lo_u32 v3, 0xb9b, v4
	v_xor_b32_e32 v2, v3, v2
	v_mov_b32_e32 v3, 0
	s_waitcnt lgkmcnt(0)
	s_load_dword s2, s[0:1], 0x0
	s_waitcnt lgkmcnt(0)
	s_ashr_i32 s3, s2, 31
	s_waitcnt vmcnt(1)
	v_mul_lo_u32 v4, 0x38f, v5
	s_waitcnt vmcnt(0)
	v_mul_lo_u32 v1, 0x161, v1
	v_xor3_b32 v1, v2, v4, v1
	v_ashrrev_i32_e32 v2, 31, v1
	v_or_b32_e32 v4, s3, v2
	v_cmp_ne_u64_e32 vcc_lo, 0, v[3:4]
                                        ; implicit-def: $vgpr3_vgpr4
	s_and_saveexec_b32 s0, vcc_lo
	s_xor_b32 s1, exec_lo, s0
	s_cbranch_execz .LBB7_4
; %bb.3:
	v_cvt_f32_u32_e32 v3, s2
	v_cvt_f32_u32_e32 v4, s3
	s_sub_u32 s7, 0, s2
	s_subb_u32 s8, 0, s3
	v_fmamk_f32 v3, v4, 0x4f800000, v3
	v_rcp_f32_e32 v3, v3
	v_mul_f32_e32 v3, 0x5f7ffffc, v3
	v_mul_f32_e32 v4, 0x2f800000, v3
	v_trunc_f32_e32 v4, v4
	v_fmamk_f32 v3, v4, 0xcf800000, v3
	v_cvt_u32_f32_e32 v4, v4
	v_cvt_u32_f32_e32 v3, v3
	v_readfirstlane_b32 s0, v4
	v_readfirstlane_b32 s6, v3
	s_mul_i32 s9, s7, s0
	s_mul_hi_u32 s11, s7, s6
	s_mul_i32 s10, s8, s6
	s_add_i32 s9, s11, s9
	s_mul_i32 s12, s7, s6
	s_add_i32 s9, s9, s10
	s_mul_hi_u32 s11, s6, s12
	s_mul_i32 s14, s6, s9
	s_mul_hi_u32 s13, s0, s12
	s_mul_i32 s10, s0, s12
	s_mul_hi_u32 s12, s6, s9
	s_add_u32 s11, s11, s14
	s_addc_u32 s12, 0, s12
	s_mul_hi_u32 s15, s0, s9
	s_add_u32 s10, s11, s10
	s_mul_i32 s9, s0, s9
	s_addc_u32 s10, s12, s13
	s_addc_u32 s11, s15, 0
	s_add_u32 s9, s10, s9
	s_addc_u32 s10, 0, s11
	s_add_u32 s6, s6, s9
	s_cselect_b32 s9, -1, 0
	s_mul_hi_u32 s11, s7, s6
	s_cmp_lg_u32 s9, 0
	s_mul_i32 s9, s7, s6
	s_addc_u32 s0, s0, s10
	s_mul_i32 s8, s8, s6
	s_mul_i32 s7, s7, s0
	s_mul_hi_u32 s10, s6, s9
	s_add_i32 s7, s11, s7
	s_mul_hi_u32 s11, s0, s9
	s_add_i32 s7, s7, s8
	s_mul_i32 s8, s0, s9
	s_mul_i32 s13, s6, s7
	s_mul_hi_u32 s12, s6, s7
	s_add_u32 s10, s10, s13
	s_addc_u32 s12, 0, s12
	s_mul_hi_u32 s9, s0, s7
	s_add_u32 s8, s10, s8
	s_mul_i32 s7, s0, s7
	s_addc_u32 s8, s12, s11
	s_addc_u32 s9, s9, 0
	s_add_u32 s7, s8, s7
	s_addc_u32 s8, 0, s9
	s_add_u32 s6, s6, s7
	s_cselect_b32 s7, -1, 0
	v_mul_hi_u32 v9, v1, s6
	s_cmp_lg_u32 s7, 0
	v_mad_u64_u32 v[5:6], null, v2, s6, 0
	s_addc_u32 s0, s0, s8
	v_mad_u64_u32 v[3:4], null, v1, s0, 0
	v_mad_u64_u32 v[7:8], null, v2, s0, 0
	v_add_co_u32 v3, vcc_lo, v9, v3
	v_add_co_ci_u32_e64 v4, null, 0, v4, vcc_lo
	v_add_co_u32 v3, vcc_lo, v3, v5
	v_add_co_ci_u32_e32 v3, vcc_lo, v4, v6, vcc_lo
	v_add_co_ci_u32_e32 v4, vcc_lo, 0, v8, vcc_lo
	v_add_co_u32 v3, vcc_lo, v3, v7
	v_add_co_ci_u32_e64 v5, null, 0, v4, vcc_lo
	v_mul_lo_u32 v6, s3, v3
	v_mad_u64_u32 v[3:4], null, s2, v3, 0
	v_mul_lo_u32 v5, s2, v5
	v_sub_co_u32 v1, vcc_lo, v1, v3
	v_add3_u32 v4, v4, v5, v6
	v_cmp_le_u32_e64 s0, s2, v1
	v_sub_nc_u32_e32 v5, v2, v4
	v_sub_co_ci_u32_e64 v2, null, v2, v4, vcc_lo
	v_cndmask_b32_e64 v6, 0, -1, s0
	v_subrev_co_ci_u32_e64 v3, null, s3, v5, vcc_lo
	v_sub_co_u32 v4, vcc_lo, v1, s2
	v_subrev_co_ci_u32_e64 v5, null, 0, v3, vcc_lo
	v_cmp_le_u32_e64 s0, s2, v4
	v_subrev_co_ci_u32_e64 v3, null, s3, v3, vcc_lo
	v_cmp_le_u32_e32 vcc_lo, s3, v2
	v_cndmask_b32_e64 v7, 0, -1, s0
	v_cmp_le_u32_e64 s0, s3, v5
	v_cndmask_b32_e64 v9, 0, -1, vcc_lo
	v_cmp_eq_u32_e32 vcc_lo, s3, v5
	v_cndmask_b32_e64 v8, 0, -1, s0
	v_cmp_eq_u32_e64 s0, s3, v2
	v_cndmask_b32_e32 v7, v8, v7, vcc_lo
	v_sub_co_u32 v8, vcc_lo, v4, s2
	v_subrev_co_ci_u32_e64 v3, null, 0, v3, vcc_lo
	v_cmp_ne_u32_e32 vcc_lo, 0, v7
	v_cndmask_b32_e64 v6, v9, v6, s0
	v_cndmask_b32_e32 v3, v5, v3, vcc_lo
	v_cndmask_b32_e32 v5, v4, v8, vcc_lo
	v_cmp_ne_u32_e32 vcc_lo, 0, v6
	v_cndmask_b32_e32 v4, v2, v3, vcc_lo
	v_cndmask_b32_e32 v3, v1, v5, vcc_lo
                                        ; implicit-def: $vgpr1_vgpr2
.LBB7_4:
	s_andn2_saveexec_b32 s0, s1
	s_cbranch_execz .LBB7_6
; %bb.5:
	v_cvt_f32_u32_e32 v2, s2
	s_sub_i32 s1, 0, s2
	v_mov_b32_e32 v4, 0
	v_rcp_iflag_f32_e32 v2, v2
	v_mul_f32_e32 v2, 0x4f7ffffe, v2
	v_cvt_u32_f32_e32 v2, v2
	v_mul_lo_u32 v3, s1, v2
	v_mul_hi_u32 v3, v2, v3
	v_add_nc_u32_e32 v2, v2, v3
	v_mul_hi_u32 v2, v1, v2
	v_mul_lo_u32 v2, v2, s2
	v_sub_nc_u32_e32 v1, v1, v2
	v_subrev_nc_u32_e32 v2, s2, v1
	v_cmp_le_u32_e32 vcc_lo, s2, v1
	v_cndmask_b32_e32 v1, v1, v2, vcc_lo
	v_subrev_nc_u32_e32 v2, s2, v1
	v_cmp_le_u32_e32 vcc_lo, s2, v1
	v_cndmask_b32_e32 v3, v1, v2, vcc_lo
.LBB7_6:
	s_or_b32 exec_lo, exec_lo, s0
	s_load_dwordx2 s[0:1], s[4:5], 0x0
	v_add_nc_u32_e32 v1, s2, v0
	v_add_nc_u32_e32 v8, 1, v0
	v_mov_b32_e32 v5, 0
	s_mov_b32 s2, 0
	s_getpc_b64 s[4:5]
	s_add_u32 s4, s4, P@rel32@lo+4
	s_addc_u32 s5, s5, P@rel32@hi+12
	v_ashrrev_i32_e32 v2, 31, v1
	v_lshlrev_b64 v[1:2], 3, v[1:2]
	s_waitcnt lgkmcnt(0)
	v_add_co_u32 v6, vcc_lo, s0, v1
	v_add_co_ci_u32_e64 v7, null, s1, v2, vcc_lo
	v_mov_b32_e32 v2, -1
	global_store_dword v[6:7], v8, off
	.p2align	6
.LBB7_7:                                ; =>This Inner Loop Header: Depth=1
	global_load_dwordx2 v[6:7], v5, s[4:5]
	v_lshlrev_b64 v[3:4], 3, v[3:4]
	v_add_co_u32 v3, vcc_lo, s0, v3
	v_add_co_ci_u32_e64 v4, null, s1, v4, vcc_lo
	s_waitcnt vmcnt(0)
	global_load_dword v1, v[6:7], off
	s_waitcnt vmcnt(0)
	v_add_nc_u32_e32 v1, v1, v0
	global_atomic_cmpswap v3, v[3:4], v[1:2], off offset:4 glc
	s_waitcnt vmcnt(0)
	v_cmp_eq_u32_e32 vcc_lo, -1, v3
	v_ashrrev_i32_e32 v4, 31, v3
	s_or_b32 s2, vcc_lo, s2
	s_andn2_b32 exec_lo, exec_lo, s2
	s_cbranch_execnz .LBB7_7
.LBB7_8:
	s_endpgm
	.section	.rodata,"a",@progbits
	.p2align	6, 0x0
	.amdhsa_kernel _Z14BuildHashTablePN2rw9TableNodeEiPiS2_S2_S2_
		.amdhsa_group_segment_fixed_size 0
		.amdhsa_private_segment_fixed_size 0
		.amdhsa_kernarg_size 304
		.amdhsa_user_sgpr_count 6
		.amdhsa_user_sgpr_private_segment_buffer 1
		.amdhsa_user_sgpr_dispatch_ptr 0
		.amdhsa_user_sgpr_queue_ptr 0
		.amdhsa_user_sgpr_kernarg_segment_ptr 1
		.amdhsa_user_sgpr_dispatch_id 0
		.amdhsa_user_sgpr_flat_scratch_init 0
		.amdhsa_user_sgpr_private_segment_size 0
		.amdhsa_wavefront_size32 1
		.amdhsa_uses_dynamic_stack 0
		.amdhsa_system_sgpr_private_segment_wavefront_offset 0
		.amdhsa_system_sgpr_workgroup_id_x 1
		.amdhsa_system_sgpr_workgroup_id_y 0
		.amdhsa_system_sgpr_workgroup_id_z 0
		.amdhsa_system_sgpr_workgroup_info 0
		.amdhsa_system_vgpr_workitem_id 0
		.amdhsa_next_free_vgpr 10
		.amdhsa_next_free_sgpr 16
		.amdhsa_reserve_vcc 1
		.amdhsa_reserve_flat_scratch 0
		.amdhsa_float_round_mode_32 0
		.amdhsa_float_round_mode_16_64 0
		.amdhsa_float_denorm_mode_32 3
		.amdhsa_float_denorm_mode_16_64 3
		.amdhsa_dx10_clamp 1
		.amdhsa_ieee_mode 1
		.amdhsa_fp16_overflow 0
		.amdhsa_workgroup_processor_mode 1
		.amdhsa_memory_ordered 1
		.amdhsa_forward_progress 1
		.amdhsa_shared_vgpr_count 0
		.amdhsa_exception_fp_ieee_invalid_op 0
		.amdhsa_exception_fp_denorm_src 0
		.amdhsa_exception_fp_ieee_div_zero 0
		.amdhsa_exception_fp_ieee_overflow 0
		.amdhsa_exception_fp_ieee_underflow 0
		.amdhsa_exception_fp_ieee_inexact 0
		.amdhsa_exception_int_div_zero 0
	.end_amdhsa_kernel
	.text
.Lfunc_end7:
	.size	_Z14BuildHashTablePN2rw9TableNodeEiPiS2_S2_S2_, .Lfunc_end7-_Z14BuildHashTablePN2rw9TableNodeEiPiS2_S2_S2_
                                        ; -- End function
	.set _Z14BuildHashTablePN2rw9TableNodeEiPiS2_S2_S2_.num_vgpr, 10
	.set _Z14BuildHashTablePN2rw9TableNodeEiPiS2_S2_S2_.num_agpr, 0
	.set _Z14BuildHashTablePN2rw9TableNodeEiPiS2_S2_S2_.numbered_sgpr, 16
	.set _Z14BuildHashTablePN2rw9TableNodeEiPiS2_S2_S2_.num_named_barrier, 0
	.set _Z14BuildHashTablePN2rw9TableNodeEiPiS2_S2_S2_.private_seg_size, 0
	.set _Z14BuildHashTablePN2rw9TableNodeEiPiS2_S2_S2_.uses_vcc, 1
	.set _Z14BuildHashTablePN2rw9TableNodeEiPiS2_S2_S2_.uses_flat_scratch, 0
	.set _Z14BuildHashTablePN2rw9TableNodeEiPiS2_S2_S2_.has_dyn_sized_stack, 0
	.set _Z14BuildHashTablePN2rw9TableNodeEiPiS2_S2_S2_.has_recursion, 0
	.set _Z14BuildHashTablePN2rw9TableNodeEiPiS2_S2_S2_.has_indirect_call, 0
	.section	.AMDGPU.csdata,"",@progbits
; Kernel info:
; codeLenInByte = 1176
; TotalNumSgprs: 18
; NumVgprs: 10
; ScratchSize: 0
; MemoryBound: 0
; FloatMode: 240
; IeeeMode: 1
; LDSByteSize: 0 bytes/workgroup (compile time only)
; SGPRBlocks: 0
; VGPRBlocks: 1
; NumSGPRsForWavesPerEU: 18
; NumVGPRsForWavesPerEU: 10
; Occupancy: 16
; WaveLimiterHint : 1
; COMPUTE_PGM_RSRC2:SCRATCH_EN: 0
; COMPUTE_PGM_RSRC2:USER_SGPR: 6
; COMPUTE_PGM_RSRC2:TRAP_HANDLER: 0
; COMPUTE_PGM_RSRC2:TGID_X_EN: 1
; COMPUTE_PGM_RSRC2:TGID_Y_EN: 0
; COMPUTE_PGM_RSRC2:TGID_Z_EN: 0
; COMPUTE_PGM_RSRC2:TIDIG_COMP_CNT: 0
	.text
	.p2align	2                               ; -- Begin function _Z10BuildSubgriiPN2rw7LibraryEPimS2_S2_S2_S2_S2_PNS_9TableNodeEi
	.type	_Z10BuildSubgriiPN2rw7LibraryEPimS2_S2_S2_S2_S2_PNS_9TableNodeEi,@function
_Z10BuildSubgriiPN2rw7LibraryEPimS2_S2_S2_S2_S2_PNS_9TableNodeEi: ; @_Z10BuildSubgriiPN2rw7LibraryEPimS2_S2_S2_S2_S2_PNS_9TableNodeEi
; %bb.0:
	s_waitcnt vmcnt(0) expcnt(0) lgkmcnt(0)
	s_mov_b32 s4, s33
	s_mov_b32 s33, s32
	s_or_saveexec_b32 s5, -1
	buffer_store_dword v90, off, s[0:3], s33 offset:104 ; 4-byte Folded Spill
	s_mov_b32 exec_lo, s5
	v_writelane_b32 v90, s4, 5
	s_addk_i32 s32, 0xe00
	buffer_store_dword v40, off, s[0:3], s33 offset:100 ; 4-byte Folded Spill
	buffer_store_dword v41, off, s[0:3], s33 offset:96 ; 4-byte Folded Spill
	;; [unrolled: 1-line block ×25, first 2 shown]
	buffer_store_dword v89, off, s[0:3], s33 ; 4-byte Folded Spill
	v_writelane_b32 v90, s34, 0
	v_writelane_b32 v90, s36, 1
	;; [unrolled: 1-line block ×5, first 2 shown]
	v_mov_b32_e32 v43, v1
	v_ashrrev_i32_e32 v1, 31, v0
	v_mov_b32_e32 v45, v2
	v_mov_b32_e32 v77, v4
	;; [unrolled: 1-line block ×4, first 2 shown]
	v_lshlrev_b64 v[1:2], 2, v[0:1]
	v_mov_b32_e32 v47, v19
	v_mov_b32_e32 v56, v18
	v_mov_b32_e32 v74, v17
	v_mov_b32_e32 v75, v16
	v_mov_b32_e32 v57, v15
	v_add_co_u32 v78, vcc_lo, v77, v1
	v_add_co_ci_u32_e64 v79, null, v76, v2, vcc_lo
	v_mov_b32_e32 v58, v14
	v_mov_b32_e32 v59, v13
	;; [unrolled: 1-line block ×3, first 2 shown]
	flat_load_dword v1, v[78:79]
	v_mov_b32_e32 v61, v11
	v_mov_b32_e32 v62, v10
	;; [unrolled: 1-line block ×7, first 2 shown]
	s_mov_b32 s34, exec_lo
	s_waitcnt vmcnt(0) lgkmcnt(0)
	v_cmpx_eq_u32_e32 -1, v1
	s_cbranch_execz .LBB8_34
; %bb.1:
	v_add_nc_u32_e32 v0, -4, v0
	v_mad_i64_i32 v[2:3], null, 0xf0, v43, v[45:46]
	v_mov_b32_e32 v4, v77
	v_mov_b32_e32 v5, v76
	v_ashrrev_i32_e32 v1, 31, v0
	v_mov_b32_e32 v6, v40
	v_mov_b32_e32 v7, v41
	v_mov_b32_e32 v8, v72
	v_mov_b32_e32 v9, v63
	v_lshlrev_b64 v[0:1], 2, v[0:1]
	v_mov_b32_e32 v10, v62
	v_mov_b32_e32 v11, v61
	;; [unrolled: 1-line block ×5, first 2 shown]
	v_add_co_u32 v88, vcc_lo, v2, v0
	v_add_co_ci_u32_e64 v89, null, v3, v1, vcc_lo
	v_mov_b32_e32 v2, v45
	v_add_co_u32 v0, vcc_lo, 0xc4800, v88
	v_add_co_ci_u32_e64 v1, null, 0, v89, vcc_lo
	v_mov_b32_e32 v3, v46
	v_mov_b32_e32 v15, v57
	;; [unrolled: 1-line block ×3, first 2 shown]
	flat_load_dword v44, v[0:1] offset:1488
	v_add_co_u32 v0, vcc_lo, 0xd1800, v88
	v_add_co_ci_u32_e64 v1, null, 0, v89, vcc_lo
	v_mov_b32_e32 v17, v74
	v_mov_b32_e32 v18, v56
	;; [unrolled: 1-line block ×3, first 2 shown]
	flat_load_dword v42, v[0:1] offset:1520
	v_mov_b32_e32 v1, v43
	v_mov_b32_e32 v20, v73
	s_getpc_b64 s[36:37]
	s_add_u32 s36, s36, _Z10BuildSubgriiPN2rw7LibraryEPimS2_S2_S2_S2_S2_PNS_9TableNodeEi@rel32@lo+4
	s_addc_u32 s37, s37, _Z10BuildSubgriiPN2rw7LibraryEPimS2_S2_S2_S2_S2_PNS_9TableNodeEi@rel32@hi+12
	s_waitcnt vmcnt(1) lgkmcnt(1)
	v_mov_b32_e32 v0, v44
	s_swappc_b64 s[30:31], s[36:37]
	v_mov_b32_e32 v0, v42
	v_mov_b32_e32 v1, v43
	;; [unrolled: 1-line block ×21, first 2 shown]
	s_swappc_b64 s[30:31], s[36:37]
	s_mov_b32 s4, exec_lo
	s_mov_b32 s5, exec_lo
	v_mbcnt_lo_u32_b32 v0, s4, 0
                                        ; implicit-def: $vgpr1
	v_cmpx_eq_u32_e32 0, v0
	s_cbranch_execz .LBB8_3
; %bb.2:
	v_mov_b32_e32 v1, 0
	s_getpc_b64 s[6:7]
	s_add_u32 s6, s6, N@rel32@lo+4
	s_addc_u32 s7, s7, N@rel32@hi+12
	s_bcnt1_i32_b32 s4, s4
	v_mov_b32_e32 v3, s4
	global_load_dwordx2 v[1:2], v1, s[6:7]
	s_waitcnt vmcnt(0)
	global_atomic_add v1, v[1:2], v3, off glc
.LBB8_3:
	s_or_b32 exec_lo, exec_lo, s5
	v_ashrrev_i32_e32 v45, 31, v44
	s_waitcnt vmcnt(0)
	v_readfirstlane_b32 s4, v1
	v_ashrrev_i32_e32 v43, 31, v42
	v_lshlrev_b64 v[2:3], 2, v[44:45]
	v_add_nc_u32_e32 v6, s4, v0
	s_mov_b32 s4, exec_lo
	v_ashrrev_i32_e32 v7, 31, v6
	v_add_co_u32 v2, vcc_lo, v77, v2
	v_add_co_ci_u32_e64 v3, null, v76, v3, vcc_lo
	v_lshlrev_b64 v[9:10], 2, v[6:7]
	flat_load_dword v4, v[2:3]
	v_lshlrev_b64 v[2:3], 2, v[42:43]
	v_add_co_u32 v0, vcc_lo, v72, v9
	v_add_co_ci_u32_e64 v1, null, v63, v10, vcc_lo
	v_add_co_u32 v2, vcc_lo, v77, v2
	v_add_co_ci_u32_e64 v3, null, v76, v3, vcc_lo
	s_waitcnt vmcnt(0) lgkmcnt(0)
	flat_store_dword v[0:1], v4 offset:4
	flat_load_dword v7, v[2:3]
	v_add_co_u32 v2, vcc_lo, v62, v9
	v_add_co_ci_u32_e64 v3, null, v61, v10, vcc_lo
	v_add_co_u32 v4, vcc_lo, 0xde800, v88
	v_add_co_ci_u32_e64 v5, null, 0, v89, vcc_lo
	s_waitcnt vmcnt(0) lgkmcnt(0)
	flat_store_dword v[2:3], v7 offset:4
	flat_load_dword v7, v[4:5] offset:1552
	v_lshrrev_b64 v[4:5], v44, v[40:41]
	v_and_b32_e32 v8, 1, v4
	v_add_co_u32 v4, vcc_lo, v60, v9
	v_add_co_ci_u32_e64 v5, null, v59, v10, vcc_lo
	s_waitcnt vmcnt(0) lgkmcnt(0)
	v_xor_b32_e32 v11, v7, v8
	v_add_co_u32 v7, vcc_lo, 0xeb800, v88
	v_add_co_ci_u32_e64 v8, null, 0, v89, vcc_lo
	flat_store_dword v[4:5], v11 offset:4
	flat_load_dword v11, v[7:8] offset:1584
	v_lshrrev_b64 v[7:8], v42, v[40:41]
	v_and_b32_e32 v12, 1, v7
	v_add_co_u32 v7, vcc_lo, v58, v9
	v_add_co_ci_u32_e64 v8, null, v57, v10, vcc_lo
	s_waitcnt vmcnt(0) lgkmcnt(0)
	v_xor_b32_e32 v15, v11, v12
	flat_store_dword v[7:8], v15 offset:4
	flat_load_dword v11, v[0:1] offset:4
	flat_load_dword v13, v[2:3] offset:4
	s_waitcnt vmcnt(1) lgkmcnt(1)
	v_ashrrev_i32_e32 v12, 31, v11
	s_waitcnt vmcnt(0) lgkmcnt(0)
	v_ashrrev_i32_e32 v14, 31, v13
	v_lshlrev_b64 v[11:12], 2, v[11:12]
	v_lshlrev_b64 v[13:14], 2, v[13:14]
	v_add_co_u32 v11, vcc_lo, v75, v11
	v_add_co_ci_u32_e64 v12, null, v74, v12, vcc_lo
	v_add_co_u32 v13, vcc_lo, v75, v13
	v_add_co_ci_u32_e64 v14, null, v74, v14, vcc_lo
	flat_load_dword v16, v[4:5] offset:4
	s_clause 0x1
	flat_load_dword v11, v[11:12]
	flat_load_dword v12, v[13:14]
	v_add_co_u32 v9, vcc_lo, v75, v9
	v_add_co_ci_u32_e64 v10, null, v74, v10, vcc_lo
	s_waitcnt vmcnt(1) lgkmcnt(1)
	v_xor_b32_e32 v11, v16, v11
	s_waitcnt vmcnt(0) lgkmcnt(0)
	v_xor_b32_e32 v12, v12, v15
	v_and_b32_e32 v11, v12, v11
	flat_store_dword v[9:10], v11 offset:4
	flat_load_dword v9, v[0:1] offset:4
	flat_load_dword v11, v[2:3] offset:4
                                        ; implicit-def: $vgpr10
	s_waitcnt vmcnt(0) lgkmcnt(0)
	v_cmpx_le_i32_e64 v9, v11
	s_xor_b32 s4, exec_lo, s4
	s_cbranch_execz .LBB8_5
; %bb.4:
	flat_load_dword v10, v[7:8] offset:4
.LBB8_5:
	s_andn2_saveexec_b32 s4, s4
	s_cbranch_execz .LBB8_7
; %bb.6:
	flat_store_dword v[0:1], v11 offset:4
	flat_store_dword v[2:3], v9 offset:4
	flat_load_dword v9, v[7:8] offset:4
	s_waitcnt vmcnt(1) lgkmcnt(3)
	flat_load_dword v10, v[4:5] offset:4
	s_waitcnt vmcnt(1) lgkmcnt(1)
	flat_store_dword v[4:5], v9 offset:4
	s_waitcnt vmcnt(0) lgkmcnt(1)
	flat_store_dword v[7:8], v10 offset:4
	flat_load_dword v9, v[0:1] offset:4
	flat_load_dword v11, v[2:3] offset:4
.LBB8_7:
	s_or_b32 exec_lo, exec_lo, s4
	v_mov_b32_e32 v12, 0
	s_getpc_b64 s[4:5]
	s_add_u32 s4, s4, P@rel32@lo+4
	s_addc_u32 s5, s5, P@rel32@hi+12
	s_waitcnt vmcnt(1) lgkmcnt(1)
	v_mul_lo_u32 v9, 0x1f01, v9
	s_waitcnt vmcnt(0) lgkmcnt(0)
	v_mul_lo_u32 v11, 0xb9b, v11
	v_mul_lo_u32 v10, 0x161, v10
	global_load_dwordx2 v[13:14], v12, s[4:5]
	flat_load_dword v15, v[4:5] offset:4
	v_xor_b32_e32 v9, v11, v9
	s_waitcnt vmcnt(1)
	global_load_dword v13, v[13:14], off
	s_waitcnt vmcnt(1) lgkmcnt(0)
	v_mul_lo_u32 v14, 0x38f, v15
	v_xor3_b32 v9, v9, v14, v10
	v_ashrrev_i32_e32 v10, 31, v9
	s_waitcnt vmcnt(0)
	v_readfirstlane_b32 s5, v13
	s_ashr_i32 s7, s5, 31
	v_or_b32_e32 v13, s7, v10
	v_cmp_ne_u64_e32 vcc_lo, 0, v[12:13]
                                        ; implicit-def: $vgpr11_vgpr12
	s_and_saveexec_b32 s4, vcc_lo
	s_xor_b32 s6, exec_lo, s4
	s_cbranch_execz .LBB8_9
; %bb.8:
	v_cvt_f32_u32_e32 v11, s5
	v_cvt_f32_u32_e32 v12, s7
	s_sub_u32 s9, 0, s5
	s_subb_u32 s10, 0, s7
	v_fmamk_f32 v11, v12, 0x4f800000, v11
	v_rcp_f32_e32 v11, v11
	v_mul_f32_e32 v11, 0x5f7ffffc, v11
	v_mul_f32_e32 v12, 0x2f800000, v11
	v_trunc_f32_e32 v12, v12
	v_fmamk_f32 v11, v12, 0xcf800000, v11
	v_cvt_u32_f32_e32 v12, v12
	v_cvt_u32_f32_e32 v11, v11
	v_readfirstlane_b32 s4, v12
	v_readfirstlane_b32 s8, v11
	s_mul_i32 s11, s9, s4
	s_mul_hi_u32 s13, s9, s8
	s_mul_i32 s12, s10, s8
	s_add_i32 s11, s13, s11
	s_mul_i32 s14, s9, s8
	s_add_i32 s11, s11, s12
	s_mul_hi_u32 s13, s8, s14
	s_mul_i32 s16, s8, s11
	s_mul_hi_u32 s15, s4, s14
	s_mul_i32 s12, s4, s14
	s_mul_hi_u32 s14, s8, s11
	s_add_u32 s13, s13, s16
	s_addc_u32 s14, 0, s14
	s_mul_hi_u32 s17, s4, s11
	s_add_u32 s12, s13, s12
	s_mul_i32 s11, s4, s11
	s_addc_u32 s12, s14, s15
	s_addc_u32 s13, s17, 0
	s_add_u32 s11, s12, s11
	s_addc_u32 s12, 0, s13
	s_add_u32 s8, s8, s11
	s_cselect_b32 s11, -1, 0
	s_mul_hi_u32 s13, s9, s8
	s_cmp_lg_u32 s11, 0
	s_mul_i32 s11, s9, s8
	s_addc_u32 s4, s4, s12
	s_mul_i32 s10, s10, s8
	s_mul_i32 s9, s9, s4
	s_mul_hi_u32 s12, s8, s11
	s_add_i32 s9, s13, s9
	s_mul_hi_u32 s13, s4, s11
	s_add_i32 s9, s9, s10
	s_mul_i32 s10, s4, s11
	s_mul_i32 s15, s8, s9
	s_mul_hi_u32 s14, s8, s9
	s_add_u32 s12, s12, s15
	s_addc_u32 s14, 0, s14
	s_mul_hi_u32 s11, s4, s9
	s_add_u32 s10, s12, s10
	s_mul_i32 s9, s4, s9
	s_addc_u32 s10, s14, s13
	s_addc_u32 s11, s11, 0
	s_add_u32 s9, s10, s9
	s_addc_u32 s10, 0, s11
	s_add_u32 s8, s8, s9
	s_cselect_b32 s9, -1, 0
	v_mul_hi_u32 v17, v9, s8
	s_cmp_lg_u32 s9, 0
	v_mad_u64_u32 v[13:14], null, v10, s8, 0
	s_addc_u32 s4, s4, s10
	v_mad_u64_u32 v[11:12], null, v9, s4, 0
	v_mad_u64_u32 v[15:16], null, v10, s4, 0
	v_add_co_u32 v11, vcc_lo, v17, v11
	v_add_co_ci_u32_e64 v12, null, 0, v12, vcc_lo
	v_add_co_u32 v11, vcc_lo, v11, v13
	v_add_co_ci_u32_e32 v11, vcc_lo, v12, v14, vcc_lo
	v_add_co_ci_u32_e32 v12, vcc_lo, 0, v16, vcc_lo
	v_add_co_u32 v11, vcc_lo, v11, v15
	v_add_co_ci_u32_e64 v13, null, 0, v12, vcc_lo
	v_mul_lo_u32 v14, s7, v11
	v_mad_u64_u32 v[11:12], null, s5, v11, 0
	v_mul_lo_u32 v13, s5, v13
	v_sub_co_u32 v9, vcc_lo, v9, v11
	v_add3_u32 v12, v12, v13, v14
	v_cmp_le_u32_e64 s4, s5, v9
	v_sub_nc_u32_e32 v13, v10, v12
	v_sub_co_ci_u32_e64 v10, null, v10, v12, vcc_lo
	v_cndmask_b32_e64 v14, 0, -1, s4
	v_subrev_co_ci_u32_e64 v11, null, s7, v13, vcc_lo
	v_sub_co_u32 v12, vcc_lo, v9, s5
	v_subrev_co_ci_u32_e64 v13, null, 0, v11, vcc_lo
	v_cmp_le_u32_e64 s4, s5, v12
	v_subrev_co_ci_u32_e64 v11, null, s7, v11, vcc_lo
	v_cmp_le_u32_e32 vcc_lo, s7, v10
	v_cndmask_b32_e64 v15, 0, -1, s4
	v_cmp_le_u32_e64 s4, s7, v13
	v_cndmask_b32_e64 v17, 0, -1, vcc_lo
	v_cmp_eq_u32_e32 vcc_lo, s7, v13
	v_cndmask_b32_e64 v16, 0, -1, s4
	v_cmp_eq_u32_e64 s4, s7, v10
	v_cndmask_b32_e32 v15, v16, v15, vcc_lo
	v_sub_co_u32 v16, vcc_lo, v12, s5
	v_subrev_co_ci_u32_e64 v11, null, 0, v11, vcc_lo
	v_cmp_ne_u32_e32 vcc_lo, 0, v15
	v_cndmask_b32_e64 v14, v17, v14, s4
	v_cndmask_b32_e32 v11, v13, v11, vcc_lo
	v_cndmask_b32_e32 v13, v12, v16, vcc_lo
	v_cmp_ne_u32_e32 vcc_lo, 0, v14
	v_cndmask_b32_e32 v12, v10, v11, vcc_lo
	v_cndmask_b32_e32 v11, v9, v13, vcc_lo
                                        ; implicit-def: $vgpr9_vgpr10
.LBB8_9:
	s_andn2_saveexec_b32 s4, s6
	s_cbranch_execz .LBB8_11
; %bb.10:
	v_cvt_f32_u32_e32 v10, s5
	s_sub_i32 s6, 0, s5
	v_mov_b32_e32 v12, 0
	v_rcp_iflag_f32_e32 v10, v10
	v_mul_f32_e32 v10, 0x4f7ffffe, v10
	v_cvt_u32_f32_e32 v10, v10
	v_mul_lo_u32 v11, s6, v10
	v_mul_hi_u32 v11, v10, v11
	v_add_nc_u32_e32 v10, v10, v11
	v_mul_hi_u32 v10, v9, v10
	v_mul_lo_u32 v10, v10, s5
	v_sub_nc_u32_e32 v9, v9, v10
	v_subrev_nc_u32_e32 v10, s5, v9
	v_cmp_le_u32_e32 vcc_lo, s5, v9
	v_cndmask_b32_e32 v9, v9, v10, vcc_lo
	v_subrev_nc_u32_e32 v10, s5, v9
	v_cmp_le_u32_e32 vcc_lo, s5, v9
	v_cndmask_b32_e32 v11, v9, v10, vcc_lo
.LBB8_11:
	s_or_b32 exec_lo, exec_lo, s4
	v_sub_nc_u32_e32 v14, v6, v73
	v_add_nc_u32_e32 v13, 1, v6
	v_mov_b32_e32 v6, 0
	s_mov_b32 s4, 0
	s_getpc_b64 s[6:7]
	s_add_u32 s6, s6, P@rel32@lo+4
	s_addc_u32 s7, s7, P@rel32@hi+12
	v_add_nc_u32_e32 v9, s5, v14
	v_ashrrev_i32_e32 v10, 31, v9
	v_lshlrev_b64 v[9:10], 3, v[9:10]
	v_add_co_u32 v15, vcc_lo, v56, v9
	v_add_co_ci_u32_e64 v16, null, v47, v10, vcc_lo
	v_mov_b32_e32 v10, -1
	flat_store_dword v[15:16], v13
	.p2align	6
.LBB8_12:                               ; =>This Inner Loop Header: Depth=1
	global_load_dwordx2 v[15:16], v6, s[6:7]
	v_lshlrev_b64 v[11:12], 3, v[11:12]
	v_add_co_u32 v11, vcc_lo, v56, v11
	v_add_co_ci_u32_e64 v12, null, v47, v12, vcc_lo
	s_waitcnt vmcnt(0)
	global_load_dword v9, v[15:16], off
	s_waitcnt vmcnt(0)
	v_add_nc_u32_e32 v9, v9, v14
	flat_atomic_cmpswap v11, v[11:12], v[9:10] offset:4 glc
	s_waitcnt vmcnt(0) lgkmcnt(0)
	v_cmp_eq_u32_e32 vcc_lo, -1, v11
	v_ashrrev_i32_e32 v12, 31, v11
	s_or_b32 s4, vcc_lo, s4
	s_andn2_b32 exec_lo, exec_lo, s4
	s_cbranch_execnz .LBB8_12
; %bb.13:
	s_or_b32 exec_lo, exec_lo, s4
	flat_load_dword v9, v[0:1] offset:4
	flat_load_dword v6, v[2:3] offset:4
	;; [unrolled: 1-line block ×4, first 2 shown]
	s_mov_b32 s4, exec_lo
	s_waitcnt vmcnt(2) lgkmcnt(2)
	v_mov_b32_e32 v12, v6
	s_waitcnt vmcnt(1) lgkmcnt(1)
	v_mov_b32_e32 v11, v7
	v_cmpx_gt_i32_e64 v9, v6
	s_cbranch_execz .LBB8_15
; %bb.14:
	s_waitcnt vmcnt(0) lgkmcnt(0)
	v_mov_b32_e32 v11, v10
	v_mov_b32_e32 v10, v7
	;; [unrolled: 1-line block ×4, first 2 shown]
.LBB8_15:
	s_or_b32 exec_lo, exec_lo, s4
	v_mov_b32_e32 v4, 0
	s_getpc_b64 s[4:5]
	s_add_u32 s4, s4, P@rel32@lo+4
	s_addc_u32 s5, s5, P@rel32@hi+12
	v_mul_lo_u32 v7, 0x161, v11
	v_mul_lo_u32 v8, 0x1f01, v9
	;; [unrolled: 1-line block ×3, first 2 shown]
	global_load_dwordx2 v[5:6], v4, s[4:5]
	s_waitcnt vmcnt(0)
	global_load_dword v5, v[5:6], off
	s_waitcnt lgkmcnt(0)
	v_mul_lo_u32 v6, 0x38f, v10
	v_xor_b32_e32 v6, v6, v7
	v_xor3_b32 v6, v6, v14, v8
	v_ashrrev_i32_e32 v7, 31, v6
	s_waitcnt vmcnt(0)
	v_readfirstlane_b32 s5, v5
	s_ashr_i32 s7, s5, 31
	v_or_b32_e32 v5, s7, v7
	v_cmp_ne_u64_e32 vcc_lo, 0, v[4:5]
                                        ; implicit-def: $vgpr4_vgpr5
	s_and_saveexec_b32 s4, vcc_lo
	s_xor_b32 s6, exec_lo, s4
	s_cbranch_execz .LBB8_17
; %bb.16:
	v_cvt_f32_u32_e32 v4, s5
	v_cvt_f32_u32_e32 v5, s7
	s_sub_u32 s9, 0, s5
	s_subb_u32 s10, 0, s7
	v_fmamk_f32 v4, v5, 0x4f800000, v4
	v_rcp_f32_e32 v4, v4
	v_mul_f32_e32 v4, 0x5f7ffffc, v4
	v_mul_f32_e32 v5, 0x2f800000, v4
	v_trunc_f32_e32 v5, v5
	v_fmamk_f32 v4, v5, 0xcf800000, v4
	v_cvt_u32_f32_e32 v5, v5
	v_cvt_u32_f32_e32 v4, v4
	v_readfirstlane_b32 s4, v5
	v_readfirstlane_b32 s8, v4
	s_mul_i32 s11, s9, s4
	s_mul_hi_u32 s13, s9, s8
	s_mul_i32 s12, s10, s8
	s_add_i32 s11, s13, s11
	s_mul_i32 s14, s9, s8
	s_add_i32 s11, s11, s12
	s_mul_hi_u32 s13, s8, s14
	s_mul_i32 s16, s8, s11
	s_mul_hi_u32 s15, s4, s14
	s_mul_i32 s12, s4, s14
	s_mul_hi_u32 s14, s8, s11
	s_add_u32 s13, s13, s16
	s_addc_u32 s14, 0, s14
	s_mul_hi_u32 s17, s4, s11
	s_add_u32 s12, s13, s12
	s_mul_i32 s11, s4, s11
	s_addc_u32 s12, s14, s15
	s_addc_u32 s13, s17, 0
	s_add_u32 s11, s12, s11
	s_addc_u32 s12, 0, s13
	s_add_u32 s8, s8, s11
	s_cselect_b32 s11, -1, 0
	s_mul_hi_u32 s13, s9, s8
	s_cmp_lg_u32 s11, 0
	s_mul_i32 s11, s9, s8
	s_addc_u32 s4, s4, s12
	s_mul_i32 s10, s10, s8
	s_mul_i32 s9, s9, s4
	s_mul_hi_u32 s12, s8, s11
	s_add_i32 s9, s13, s9
	s_mul_hi_u32 s13, s4, s11
	s_add_i32 s9, s9, s10
	s_mul_i32 s10, s4, s11
	s_mul_i32 s15, s8, s9
	s_mul_hi_u32 s14, s8, s9
	s_add_u32 s12, s12, s15
	s_addc_u32 s14, 0, s14
	s_mul_hi_u32 s11, s4, s9
	s_add_u32 s10, s12, s10
	s_mul_i32 s9, s4, s9
	s_addc_u32 s10, s14, s13
	s_addc_u32 s11, s11, 0
	s_add_u32 s9, s10, s9
	s_addc_u32 s10, 0, s11
	s_add_u32 s8, s8, s9
	s_cselect_b32 s9, -1, 0
	v_mul_hi_u32 v8, v6, s8
	s_cmp_lg_u32 s9, 0
	v_mad_u64_u32 v[14:15], null, v7, s8, 0
	s_addc_u32 s4, s4, s10
	v_mad_u64_u32 v[4:5], null, v6, s4, 0
	v_mad_u64_u32 v[16:17], null, v7, s4, 0
	v_add_co_u32 v4, vcc_lo, v8, v4
	v_add_co_ci_u32_e64 v5, null, 0, v5, vcc_lo
	v_add_co_u32 v4, vcc_lo, v4, v14
	v_add_co_ci_u32_e32 v4, vcc_lo, v5, v15, vcc_lo
	v_add_co_ci_u32_e32 v5, vcc_lo, 0, v17, vcc_lo
	v_add_co_u32 v4, vcc_lo, v4, v16
	v_add_co_ci_u32_e64 v8, null, 0, v5, vcc_lo
	v_mul_lo_u32 v14, s7, v4
	v_mad_u64_u32 v[4:5], null, s5, v4, 0
	v_mul_lo_u32 v8, s5, v8
	v_sub_co_u32 v4, vcc_lo, v6, v4
	v_add3_u32 v5, v5, v8, v14
	v_cmp_le_u32_e64 s4, s5, v4
	v_sub_nc_u32_e32 v8, v7, v5
	v_sub_co_ci_u32_e64 v5, null, v7, v5, vcc_lo
	v_cndmask_b32_e64 v14, 0, -1, s4
	v_subrev_co_ci_u32_e64 v6, null, s7, v8, vcc_lo
	v_sub_co_u32 v7, vcc_lo, v4, s5
	v_subrev_co_ci_u32_e64 v8, null, 0, v6, vcc_lo
	v_cmp_le_u32_e64 s4, s5, v7
	v_subrev_co_ci_u32_e64 v6, null, s7, v6, vcc_lo
	v_cmp_le_u32_e32 vcc_lo, s7, v5
	v_cndmask_b32_e64 v15, 0, -1, s4
	v_cmp_le_u32_e64 s4, s7, v8
	v_cndmask_b32_e64 v17, 0, -1, vcc_lo
	v_cmp_eq_u32_e32 vcc_lo, s7, v8
	v_cndmask_b32_e64 v16, 0, -1, s4
	v_cmp_eq_u32_e64 s4, s7, v5
	v_cndmask_b32_e32 v15, v16, v15, vcc_lo
	v_sub_co_u32 v16, vcc_lo, v7, s5
	v_subrev_co_ci_u32_e64 v6, null, 0, v6, vcc_lo
	v_cmp_ne_u32_e32 vcc_lo, 0, v15
	v_cndmask_b32_e64 v14, v17, v14, s4
	v_cndmask_b32_e32 v6, v8, v6, vcc_lo
	v_cndmask_b32_e32 v7, v7, v16, vcc_lo
	v_cmp_ne_u32_e32 vcc_lo, 0, v14
	v_cndmask_b32_e32 v5, v5, v6, vcc_lo
	v_cndmask_b32_e32 v4, v4, v7, vcc_lo
                                        ; implicit-def: $vgpr6_vgpr7
.LBB8_17:
	s_andn2_saveexec_b32 s4, s6
	s_cbranch_execz .LBB8_19
; %bb.18:
	v_cvt_f32_u32_e32 v4, s5
	s_sub_i32 s6, 0, s5
	v_rcp_iflag_f32_e32 v4, v4
	v_mul_f32_e32 v4, 0x4f7ffffe, v4
	v_cvt_u32_f32_e32 v4, v4
	v_mul_lo_u32 v5, s6, v4
	v_mul_hi_u32 v5, v4, v5
	v_add_nc_u32_e32 v4, v4, v5
	v_mul_hi_u32 v4, v6, v4
	v_mul_lo_u32 v4, v4, s5
	v_sub_nc_u32_e32 v4, v6, v4
	v_subrev_nc_u32_e32 v5, s5, v4
	v_cmp_le_u32_e32 vcc_lo, s5, v4
	v_cndmask_b32_e32 v4, v4, v5, vcc_lo
	v_subrev_nc_u32_e32 v5, s5, v4
	v_cmp_le_u32_e32 vcc_lo, s5, v4
	v_cndmask_b32_e32 v4, v4, v5, vcc_lo
	v_mov_b32_e32 v5, 0
.LBB8_19:
	s_or_b32 exec_lo, exec_lo, s4
	s_mov_b32 s4, 0
                                        ; implicit-def: $sgpr5
                                        ; implicit-def: $vgpr14
	s_branch .LBB8_22
.LBB8_20:                               ;   in Loop: Header=BB8_22 Depth=1
	s_or_b32 exec_lo, exec_lo, s9
	s_xor_b32 s7, s8, -1
	s_andn2_b32 s5, s5, exec_lo
	s_and_b32 s7, s7, exec_lo
	s_or_b32 s5, s5, s7
.LBB8_21:                               ;   in Loop: Header=BB8_22 Depth=1
	s_or_b32 exec_lo, exec_lo, s6
	v_mov_b32_e32 v14, v6
	s_and_b32 s6, exec_lo, s5
	s_or_b32 s4, s6, s4
	s_andn2_b32 exec_lo, exec_lo, s4
	s_cbranch_execz .LBB8_31
.LBB8_22:                               ; =>This Inner Loop Header: Depth=1
	v_lshlrev_b64 v[4:5], 3, v[4:5]
	v_mov_b32_e32 v6, -1
	s_or_b32 s5, s5, exec_lo
	s_mov_b32 s6, exec_lo
	v_add_co_u32 v4, vcc_lo, v56, v4
	v_add_co_ci_u32_e64 v5, null, v47, v5, vcc_lo
	flat_load_dword v4, v[4:5] offset:4
	s_waitcnt vmcnt(0) lgkmcnt(0)
	v_cmpx_ne_u32_e32 -1, v4
	s_cbranch_execz .LBB8_21
; %bb.23:                               ;   in Loop: Header=BB8_22 Depth=1
	v_ashrrev_i32_e32 v5, 31, v4
	s_mov_b32 s8, exec_lo
	v_lshlrev_b64 v[6:7], 3, v[4:5]
	v_add_co_u32 v6, vcc_lo, v56, v6
	v_add_co_ci_u32_e64 v7, null, v47, v7, vcc_lo
	flat_load_dword v6, v[6:7]
	s_waitcnt vmcnt(0) lgkmcnt(0)
	v_ashrrev_i32_e32 v7, 31, v6
	v_lshlrev_b64 v[7:8], 2, v[6:7]
	v_add_co_u32 v15, vcc_lo, v72, v7
	v_add_co_ci_u32_e64 v16, null, v63, v8, vcc_lo
	flat_load_dword v15, v[15:16]
	s_waitcnt vmcnt(0) lgkmcnt(0)
	v_cmp_ne_u32_e64 s7, v15, v9
	v_cmpx_eq_u32_e64 v15, v9
	s_cbranch_execz .LBB8_29
; %bb.24:                               ;   in Loop: Header=BB8_22 Depth=1
	v_add_co_u32 v15, vcc_lo, v62, v7
	v_add_co_ci_u32_e64 v16, null, v61, v8, vcc_lo
	s_mov_b32 s10, exec_lo
	flat_load_dword v15, v[15:16]
	s_waitcnt vmcnt(0) lgkmcnt(0)
	v_cmp_ne_u32_e64 s9, v15, v12
	v_cmpx_eq_u32_e64 v15, v12
	s_cbranch_execz .LBB8_28
; %bb.25:                               ;   in Loop: Header=BB8_22 Depth=1
	v_add_co_u32 v15, vcc_lo, v60, v7
	v_add_co_ci_u32_e64 v16, null, v59, v8, vcc_lo
	s_mov_b32 s12, exec_lo
	flat_load_dword v15, v[15:16]
	s_waitcnt vmcnt(0) lgkmcnt(0)
	v_cmp_ne_u32_e64 s11, v15, v10
	v_cmpx_eq_u32_e64 v15, v10
	s_cbranch_execz .LBB8_27
; %bb.26:                               ;   in Loop: Header=BB8_22 Depth=1
	v_add_co_u32 v7, vcc_lo, v58, v7
	v_add_co_ci_u32_e64 v8, null, v57, v8, vcc_lo
	s_andn2_b32 s11, s11, exec_lo
	flat_load_dword v7, v[7:8]
	s_waitcnt vmcnt(0) lgkmcnt(0)
	v_cmp_ne_u32_e32 vcc_lo, v7, v11
	s_and_b32 s13, vcc_lo, exec_lo
	s_or_b32 s11, s11, s13
.LBB8_27:                               ;   in Loop: Header=BB8_22 Depth=1
	s_or_b32 exec_lo, exec_lo, s12
	s_andn2_b32 s9, s9, exec_lo
	s_and_b32 s11, s11, exec_lo
	s_or_b32 s9, s9, s11
.LBB8_28:                               ;   in Loop: Header=BB8_22 Depth=1
	s_or_b32 exec_lo, exec_lo, s10
	s_andn2_b32 s7, s7, exec_lo
	s_and_b32 s9, s9, exec_lo
	s_or_b32 s7, s7, s9
.LBB8_29:                               ;   in Loop: Header=BB8_22 Depth=1
	s_or_b32 exec_lo, exec_lo, s8
	s_mov_b32 s8, 0
	s_and_saveexec_b32 s9, s7
	s_cbranch_execz .LBB8_20
; %bb.30:                               ;   in Loop: Header=BB8_22 Depth=1
	v_mov_b32_e32 v6, v14
	s_mov_b32 s8, exec_lo
	s_branch .LBB8_20
.LBB8_31:
	s_or_b32 exec_lo, exec_lo, s4
	s_mov_b32 s4, exec_lo
	v_cmpx_ne_u32_e64 v6, v13
	s_cbranch_execz .LBB8_33
; %bb.32:
	v_mov_b32_e32 v4, -1
	v_mov_b32_e32 v13, v6
	flat_store_dword v[2:3], v4 offset:4
	flat_store_dword v[0:1], v4 offset:4
.LBB8_33:
	s_or_b32 exec_lo, exec_lo, s4
	flat_store_dword v[78:79], v13
.LBB8_34:
	s_or_b32 exec_lo, exec_lo, s34
	s_clause 0x19
	buffer_load_dword v89, off, s[0:3], s33
	buffer_load_dword v88, off, s[0:3], s33 offset:4
	buffer_load_dword v79, off, s[0:3], s33 offset:8
	;; [unrolled: 1-line block ×25, first 2 shown]
	v_readlane_b32 s30, v90, 3
	v_readlane_b32 s31, v90, 4
	;; [unrolled: 1-line block ×5, first 2 shown]
	s_mov_b32 s32, s33
	v_readlane_b32 s4, v90, 5
	s_or_saveexec_b32 s5, -1
	buffer_load_dword v90, off, s[0:3], s33 offset:104 ; 4-byte Folded Reload
	s_mov_b32 exec_lo, s5
	s_mov_b32 s33, s4
	s_waitcnt vmcnt(0) lgkmcnt(0)
	s_setpc_b64 s[30:31]
.Lfunc_end8:
	.size	_Z10BuildSubgriiPN2rw7LibraryEPimS2_S2_S2_S2_S2_PNS_9TableNodeEi, .Lfunc_end8-_Z10BuildSubgriiPN2rw7LibraryEPimS2_S2_S2_S2_S2_PNS_9TableNodeEi
                                        ; -- End function
	.set .L_Z10BuildSubgriiPN2rw7LibraryEPimS2_S2_S2_S2_S2_PNS_9TableNodeEi.num_vgpr, 91
	.set .L_Z10BuildSubgriiPN2rw7LibraryEPimS2_S2_S2_S2_S2_PNS_9TableNodeEi.num_agpr, 0
	.set .L_Z10BuildSubgriiPN2rw7LibraryEPimS2_S2_S2_S2_S2_PNS_9TableNodeEi.numbered_sgpr, 38
	.set .L_Z10BuildSubgriiPN2rw7LibraryEPimS2_S2_S2_S2_S2_PNS_9TableNodeEi.num_named_barrier, 0
	.set .L_Z10BuildSubgriiPN2rw7LibraryEPimS2_S2_S2_S2_S2_PNS_9TableNodeEi.private_seg_size, 112
	.set .L_Z10BuildSubgriiPN2rw7LibraryEPimS2_S2_S2_S2_S2_PNS_9TableNodeEi.uses_vcc, 1
	.set .L_Z10BuildSubgriiPN2rw7LibraryEPimS2_S2_S2_S2_S2_PNS_9TableNodeEi.uses_flat_scratch, 1
	.set .L_Z10BuildSubgriiPN2rw7LibraryEPimS2_S2_S2_S2_S2_PNS_9TableNodeEi.has_dyn_sized_stack, 0
	.set .L_Z10BuildSubgriiPN2rw7LibraryEPimS2_S2_S2_S2_S2_PNS_9TableNodeEi.has_recursion, 1
	.set .L_Z10BuildSubgriiPN2rw7LibraryEPimS2_S2_S2_S2_S2_PNS_9TableNodeEi.has_indirect_call, 0
	.section	.AMDGPU.csdata,"",@progbits
; Function info:
; codeLenInByte = 4052
; TotalNumSgprs: 40
; NumVgprs: 91
; ScratchSize: 112
; MemoryBound: 0
	.text
	.protected	_Z12ReplaceSubgriPiS_S_S_S_PN2rw3CutEPNS0_7LibraryEPNS0_9TableNodeES6_S_S_ ; -- Begin function _Z12ReplaceSubgriPiS_S_S_S_PN2rw3CutEPNS0_7LibraryEPNS0_9TableNodeES6_S_S_
	.globl	_Z12ReplaceSubgriPiS_S_S_S_PN2rw3CutEPNS0_7LibraryEPNS0_9TableNodeES6_S_S_
	.p2align	8
	.type	_Z12ReplaceSubgriPiS_S_S_S_PN2rw3CutEPNS0_7LibraryEPNS0_9TableNodeES6_S_S_,@function
_Z12ReplaceSubgriPiS_S_S_S_PN2rw3CutEPNS0_7LibraryEPNS0_9TableNodeES6_S_S_: ; @_Z12ReplaceSubgriPiS_S_S_S_PN2rw3CutEPNS0_7LibraryEPNS0_9TableNodeES6_S_S_
; %bb.0:
	s_add_u32 s6, s6, s9
	s_movk_i32 s32, 0x2000
	s_addc_u32 s7, s7, 0
	s_setreg_b32 hwreg(HW_REG_FLAT_SCR_LO), s6
	s_setreg_b32 hwreg(HW_REG_FLAT_SCR_HI), s7
	s_clause 0x1
	s_load_dword s6, s[4:5], 0x6c
	s_load_dword s24, s[4:5], 0x0
	s_add_u32 s0, s0, s9
	s_addc_u32 s1, s1, 0
	s_waitcnt lgkmcnt(0)
	s_and_b32 s6, s6, 0xffff
	v_mad_u64_u32 v[3:4], null, s8, s6, v[0:1]
	s_mov_b32 s6, exec_lo
	v_cmpx_gt_u32_e64 s24, v3
	s_cbranch_execz .LBB9_39
; %bb.1:
	s_load_dwordx16 s[8:23], s[4:5], 0x8
	s_waitcnt lgkmcnt(0)
	v_mad_i64_i32 v[0:1], null, v3, 28, s[18:19]
	s_clause 0x1
	global_load_dwordx4 v[4:7], v[0:1], off offset:40
	global_load_dwordx4 v[8:11], v[0:1], off offset:28
	s_waitcnt vmcnt(1)
	buffer_store_dword v7, off, s[0:3], 0 offset:24
	buffer_load_ubyte v0, off, s[0:3], 0 offset:24
	buffer_store_dword v6, off, s[0:3], 0 offset:20
	buffer_store_dword v5, off, s[0:3], 0 offset:16
	;; [unrolled: 1-line block ×3, first 2 shown]
	s_waitcnt vmcnt(1)
	buffer_store_dword v11, off, s[0:3], 0 offset:12
	buffer_store_dword v10, off, s[0:3], 0 offset:8
	;; [unrolled: 1-line block ×3, first 2 shown]
	buffer_store_dword v8, off, s[0:3], 0
	s_waitcnt vmcnt(0)
	v_cmp_ne_u16_e32 vcc_lo, 0, v0
	s_and_b32 exec_lo, exec_lo, vcc_lo
	s_cbranch_execz .LBB9_39
; %bb.2:
	buffer_load_dword v0, off, s[0:3], 0 offset:20
	s_waitcnt vmcnt(0)
	v_bfe_u32 v1, v0, 27, 4
	v_cmp_lt_u32_e32 vcc_lo, 2, v1
	s_and_b32 exec_lo, exec_lo, vcc_lo
	s_cbranch_execz .LBB9_39
; %bb.3:
	v_ashrrev_i32_e32 v4, 31, v3
	s_mov_b32 s6, exec_lo
	v_cmpx_eq_u32_e32 3, v1
	s_cbranch_execz .LBB9_5
; %bb.4:
	s_mov_b32 s7, 0x87ffffff
	v_mov_b32_e32 v1, 0
	v_and_or_b32 v0, v0, s7, 0x20000000
	buffer_store_dword v0, off, s[0:3], 0 offset:20
	buffer_store_dword v1, off, s[0:3], 0 offset:16
.LBB9_5:
	s_or_b32 exec_lo, exec_lo, s6
	v_mov_b32_e32 v1, 2
	v_lshlrev_b64 v[40:41], 2, v[3:4]
	s_mov_b32 s7, 0
	s_mov_b32 s18, exec_lo
	v_lshlrev_b32_sdwa v2, v1, v0 dst_sel:DWORD dst_unused:UNUSED_PAD src0_sel:DWORD src1_sel:WORD_0
	v_add_co_u32 v6, s6, s20, v2
	v_add_co_ci_u32_e64 v8, null, s21, 0, s6
	v_add_co_u32 v0, vcc_lo, 0x40000, v6
	v_add_co_ci_u32_e64 v1, null, 0, v8, vcc_lo
	global_load_dword v5, v[0:1], off
	v_add_co_u32 v0, vcc_lo, s8, v40
	v_add_co_ci_u32_e64 v1, null, s9, v41, vcc_lo
	v_add_co_u32 v7, vcc_lo, 0x80000, v6
	v_add_co_ci_u32_e64 v8, null, 0, v8, vcc_lo
	global_load_dword v9, v[0:1], off offset:4
	global_load_dword v1, v[7:8], off offset:384
	s_waitcnt vmcnt(2)
	v_ashrrev_i32_e32 v6, 31, v5
	v_lshlrev_b64 v[4:5], 4, v[5:6]
	s_waitcnt vmcnt(1)
	v_ashrrev_i32_e32 v10, 31, v9
	v_add_co_u32 v0, vcc_lo, s20, v4
	v_add_co_ci_u32_e64 v5, null, s21, v5, vcc_lo
	s_waitcnt vmcnt(0)
	v_mad_i64_i32 v[11:12], null, 0x50, v1, s[20:21]
	v_add_co_u32 v4, vcc_lo, 0x80000, v0
	v_add_co_ci_u32_e64 v5, null, 0, v5, vcc_lo
	v_lshlrev_b64 v[8:9], 2, v[9:10]
	global_load_dwordx4 v[4:7], v[4:5], off
	v_add_co_u32 v0, vcc_lo, v11, v8
	v_add_co_ci_u32_e64 v9, null, v12, v9, vcc_lo
	v_add_co_u32 v8, vcc_lo, 0xc0800, v0
	v_add_co_ci_u32_e64 v9, null, 0, v9, vcc_lo
	global_load_dword v0, v[8:9], off offset:112
	s_waitcnt vmcnt(1)
	v_lshl_add_u32 v4, v4, 2, 0
	v_lshl_add_u32 v5, v5, 2, 0
	;; [unrolled: 1-line block ×4, first 2 shown]
	s_clause 0x3
	buffer_load_dword v8, v4, s[0:3], 0 offen offset:4
	buffer_load_dword v10, v5, s[0:3], 0 offen offset:4
	;; [unrolled: 1-line block ×4, first 2 shown]
	global_load_dword v9, v2, s[20:21]
	v_mov_b32_e32 v2, -1
	v_mov_b32_e32 v7, 0
	buffer_store_dword v2, off, s[0:3], 0 offset:48
	buffer_store_dword v2, off, s[0:3], 0 offset:52
	;; [unrolled: 1-line block ×50, first 2 shown]
	v_ashrrev_i32_e32 v2, 31, v1
	s_waitcnt vmcnt(4)
	buffer_store_dword v8, off, s[0:3], 0 offset:32
	s_waitcnt vmcnt(3)
	buffer_store_dword v10, off, s[0:3], 0 offset:36
	;; [unrolled: 2-line block ×4, first 2 shown]
	v_lshlrev_b64 v[4:5], v0, 1
	v_cmpx_lt_i32_e32 3, v0
	s_cbranch_execz .LBB9_11
; %bb.6:
	v_add_nc_u32_e32 v6, -4, v0
	s_mov_b64 s[8:9], 0
	v_lshlrev_b64 v[6:7], 2, v[6:7]
	v_mad_i64_i32 v[6:7], null, 0xf0, v1, v[6:7]
	v_add_co_u32 v6, vcc_lo, s20, v6
	v_add_co_ci_u32_e64 v7, null, s21, v7, vcc_lo
	v_add_co_u32 v6, vcc_lo, 0xc4dd0, v6
	v_add_co_ci_u32_e64 v7, null, 0, v7, vcc_lo
	s_inst_prefetch 0x1
	s_branch .LBB9_8
	.p2align	6
.LBB9_7:                                ;   in Loop: Header=BB9_8 Depth=1
	s_or_b32 exec_lo, exec_lo, s6
	s_add_u32 s8, s8, -1
	v_add_co_u32 v6, s6, v6, -4
	v_add3_u32 v8, v0, s8, 1
	v_add_co_ci_u32_e64 v7, null, -1, v7, s6
	s_addc_u32 s9, s9, -1
	v_cmp_gt_u32_e32 vcc_lo, 5, v8
	s_or_b32 s7, vcc_lo, s7
	s_andn2_b32 exec_lo, exec_lo, s7
	s_cbranch_execz .LBB9_10
.LBB9_8:                                ; =>This Inner Loop Header: Depth=1
	v_add_nc_u32_e32 v8, s8, v0
	s_mov_b32 s6, exec_lo
	v_lshrrev_b64 v[10:11], v8, v[4:5]
	v_and_b32_e32 v8, 1, v10
	v_cmpx_eq_u32_e32 1, v8
	s_cbranch_execz .LBB9_7
; %bb.9:                                ;   in Loop: Header=BB9_8 Depth=1
	v_add_co_u32 v10, vcc_lo, 0xd000, v6
	v_add_co_ci_u32_e64 v11, null, 0, v7, vcc_lo
	s_clause 0x1
	global_load_dword v8, v[6:7], off
	global_load_dword v12, v[10:11], off offset:32
	s_waitcnt vmcnt(1)
	v_lshlrev_b64 v[10:11], v8, 1
	s_waitcnt vmcnt(0)
	v_lshlrev_b64 v[12:13], v12, 1
	v_or3_b32 v5, v11, v13, v5
	v_or3_b32 v4, v10, v12, v4
	s_branch .LBB9_7
.LBB9_10:
	s_inst_prefetch 0x2
	s_or_b32 exec_lo, exec_lo, s7
.LBB9_11:
	s_or_b32 exec_lo, exec_lo, s18
	v_lshlrev_b64 v[6:7], 2, v[1:2]
	v_mov_b32_e32 v8, 0
	s_mov_b32 s9, 0
	s_mov_b32 s25, exec_lo
	v_add_co_u32 v2, vcc_lo, s20, v6
	v_add_co_ci_u32_e64 v7, null, s21, v7, vcc_lo
	v_add_co_u32 v6, vcc_lo, 0xc0000, v2
	v_add_co_ci_u32_e64 v7, null, 0, v7, vcc_lo
	global_load_dword v2, v[6:7], off offset:384
	s_waitcnt vmcnt(1)
	v_and_b32_e32 v6, 15, v9
	v_mov_b32_e32 v7, v8
	s_waitcnt vmcnt(0)
	v_cmpx_lt_i32_e32 0, v2
	s_cbranch_execz .LBB9_37
; %bb.12:
	s_getpc_b64 s[6:7]
	s_add_u32 s6, s6, P@rel32@lo+4
	s_addc_u32 s7, s7, P@rel32@hi+12
	v_mad_i64_i32 v[9:10], null, 0xf0, v1, s[20:21]
	s_load_dwordx2 s[18:19], s[6:7], 0x0
	s_mov_b32 s26, 0
	s_mov_b32 s8, s9
	v_add_co_u32 v14, vcc_lo, 0xc4dd0, v9
	v_add_co_ci_u32_e64 v15, null, 0, v10, vcc_lo
	v_add_co_u32 v16, vcc_lo, 0xd1df0, v9
	v_add_co_ci_u32_e64 v17, null, 0, v10, vcc_lo
	;; [unrolled: 2-line block ×4, first 2 shown]
	s_branch .LBB9_14
.LBB9_13:                               ;   in Loop: Header=BB9_14 Depth=1
	s_or_b32 exec_lo, exec_lo, s27
	s_add_i32 s8, s8, 1
	v_cmp_eq_u32_e32 vcc_lo, s8, v2
	s_or_b32 s26, vcc_lo, s26
	s_andn2_b32 exec_lo, exec_lo, s26
	s_cbranch_execz .LBB9_37
.LBB9_14:                               ; =>This Loop Header: Depth=1
                                        ;     Child Loop BB9_26 Depth 2
	s_add_i32 s6, s8, 4
	s_mov_b32 s27, exec_lo
	v_lshrrev_b64 v[9:10], s6, v[4:5]
	v_and_b32_e32 v9, 1, v9
	v_cmpx_eq_u32_e32 1, v9
	s_cbranch_execz .LBB9_13
; %bb.15:                               ;   in Loop: Header=BB9_14 Depth=1
	s_lshl_b64 s[6:7], s[8:9], 2
	v_add_co_u32 v9, vcc_lo, v14, s6
	v_add_co_ci_u32_e64 v10, null, s7, v15, vcc_lo
	global_load_dword v10, v[9:10], off
	s_waitcnt vmcnt(0)
	v_lshl_add_u32 v9, v10, 2, 32
	buffer_load_dword v22, v9, s[0:3], 0 offen
	s_waitcnt vmcnt(0)
	v_cmp_ne_u32_e32 vcc_lo, -1, v22
	s_and_b32 exec_lo, exec_lo, vcc_lo
	s_cbranch_execz .LBB9_13
; %bb.16:                               ;   in Loop: Header=BB9_14 Depth=1
	v_add_co_u32 v11, vcc_lo, v16, s6
	v_add_co_ci_u32_e64 v12, null, s7, v17, vcc_lo
	global_load_dword v11, v[11:12], off
	s_waitcnt vmcnt(0)
	v_lshl_add_u32 v9, v11, 2, 32
	buffer_load_dword v9, v9, s[0:3], 0 offen
	s_waitcnt vmcnt(0)
	v_cmp_ne_u32_e32 vcc_lo, -1, v9
	s_and_b32 exec_lo, exec_lo, vcc_lo
	s_cbranch_execz .LBB9_13
; %bb.17:                               ;   in Loop: Header=BB9_14 Depth=1
	v_add_co_u32 v12, vcc_lo, v20, s6
	v_add_co_ci_u32_e64 v13, null, s7, v21, vcc_lo
	v_add_co_u32 v23, vcc_lo, v18, s6
	v_add_co_ci_u32_e64 v24, null, s7, v19, vcc_lo
	s_clause 0x1
	global_load_dword v25, v[12:13], off
	global_load_dword v23, v[23:24], off
	v_lshrrev_b64 v[11:12], v11, v[6:7]
	v_lshrrev_b64 v[12:13], v10, v[6:7]
	s_mov_b32 s6, exec_lo
	v_and_b32_e32 v10, 1, v11
	v_and_b32_e32 v11, 1, v12
	s_waitcnt vmcnt(1)
	v_xor_b32_e32 v10, v25, v10
	s_waitcnt vmcnt(0)
	v_xor_b32_e32 v23, v23, v11
	v_mov_b32_e32 v25, v9
	v_mov_b32_e32 v24, v10
	v_cmpx_gt_i32_e64 v22, v9
; %bb.18:                               ;   in Loop: Header=BB9_14 Depth=1
	v_mov_b32_e32 v24, v23
	v_mov_b32_e32 v23, v10
	;; [unrolled: 1-line block ×4, first 2 shown]
; %bb.19:                               ;   in Loop: Header=BB9_14 Depth=1
	s_or_b32 exec_lo, exec_lo, s6
	v_mul_lo_u32 v9, 0x38f, v23
	v_mul_lo_u32 v10, 0x161, v24
	s_waitcnt lgkmcnt(0)
	s_load_dword s7, s[18:19], 0x0
	v_mul_lo_u32 v11, 0x1f01, v22
	v_mul_lo_u32 v12, 0xb9b, v25
	v_xor_b32_e32 v9, v9, v10
	v_xor3_b32 v11, v9, v12, v11
	v_ashrrev_i32_e32 v12, 31, v11
	s_waitcnt lgkmcnt(0)
	s_ashr_i32 s29, s7, 31
	v_or_b32_e32 v9, s29, v12
	v_cmp_ne_u64_e32 vcc_lo, 0, v[8:9]
                                        ; implicit-def: $vgpr9_vgpr10
	s_and_saveexec_b32 s6, vcc_lo
	s_xor_b32 s28, exec_lo, s6
	s_cbranch_execz .LBB9_21
; %bb.20:                               ;   in Loop: Header=BB9_14 Depth=1
	v_cvt_f32_u32_e32 v9, s7
	v_cvt_f32_u32_e32 v10, s29
	s_sub_u32 s31, 0, s7
	s_subb_u32 s33, 0, s29
	v_fmac_f32_e32 v9, 0x4f800000, v10
	v_rcp_f32_e32 v9, v9
	v_mul_f32_e32 v9, 0x5f7ffffc, v9
	v_mul_f32_e32 v10, 0x2f800000, v9
	v_trunc_f32_e32 v10, v10
	v_fmac_f32_e32 v9, 0xcf800000, v10
	v_cvt_u32_f32_e32 v10, v10
	v_cvt_u32_f32_e32 v9, v9
	v_readfirstlane_b32 s6, v10
	v_readfirstlane_b32 s30, v9
	s_mul_i32 s34, s31, s6
	s_mul_hi_u32 s36, s31, s30
	s_mul_i32 s35, s33, s30
	s_add_i32 s34, s36, s34
	s_mul_i32 s37, s31, s30
	s_add_i32 s34, s34, s35
	s_mul_hi_u32 s36, s30, s37
	s_mul_i32 s39, s30, s34
	s_mul_hi_u32 s38, s6, s37
	s_mul_i32 s35, s6, s37
	s_mul_hi_u32 s37, s30, s34
	s_add_u32 s36, s36, s39
	s_addc_u32 s37, 0, s37
	s_mul_hi_u32 s40, s6, s34
	s_add_u32 s35, s36, s35
	s_mul_i32 s34, s6, s34
	s_addc_u32 s35, s37, s38
	s_addc_u32 s36, s40, 0
	s_add_u32 s34, s35, s34
	s_addc_u32 s35, 0, s36
	s_add_u32 s30, s30, s34
	s_cselect_b32 s34, -1, 0
	s_mul_hi_u32 s36, s31, s30
	s_cmp_lg_u32 s34, 0
	s_mul_i32 s34, s31, s30
	s_addc_u32 s6, s6, s35
	s_mul_i32 s33, s33, s30
	s_mul_i32 s31, s31, s6
	s_mul_hi_u32 s35, s30, s34
	s_add_i32 s31, s36, s31
	s_mul_hi_u32 s36, s6, s34
	s_add_i32 s31, s31, s33
	s_mul_i32 s33, s6, s34
	s_mul_i32 s38, s30, s31
	s_mul_hi_u32 s37, s30, s31
	s_add_u32 s35, s35, s38
	s_addc_u32 s37, 0, s37
	s_mul_hi_u32 s34, s6, s31
	s_add_u32 s33, s35, s33
	s_mul_i32 s31, s6, s31
	s_addc_u32 s33, s37, s36
	s_addc_u32 s34, s34, 0
	s_add_u32 s31, s33, s31
	s_addc_u32 s33, 0, s34
	s_add_u32 s30, s30, s31
	s_cselect_b32 s31, -1, 0
	v_mul_hi_u32 v13, v11, s30
	s_cmp_lg_u32 s31, 0
	v_mad_u64_u32 v[26:27], null, v12, s30, 0
	s_addc_u32 s6, s6, s33
	v_mad_u64_u32 v[9:10], null, v11, s6, 0
	v_mad_u64_u32 v[28:29], null, v12, s6, 0
	v_add_co_u32 v9, vcc_lo, v13, v9
	v_add_co_ci_u32_e64 v10, null, 0, v10, vcc_lo
	v_add_co_u32 v9, vcc_lo, v9, v26
	v_add_co_ci_u32_e32 v9, vcc_lo, v10, v27, vcc_lo
	v_add_co_ci_u32_e32 v10, vcc_lo, 0, v29, vcc_lo
	v_add_co_u32 v9, vcc_lo, v9, v28
	v_add_co_ci_u32_e64 v13, null, 0, v10, vcc_lo
	v_mul_lo_u32 v26, s29, v9
	v_mad_u64_u32 v[9:10], null, s7, v9, 0
	v_mul_lo_u32 v13, s7, v13
	v_sub_co_u32 v9, vcc_lo, v11, v9
	v_add3_u32 v10, v10, v13, v26
	v_cmp_le_u32_e64 s6, s7, v9
	v_sub_nc_u32_e32 v13, v12, v10
	v_sub_co_ci_u32_e64 v10, null, v12, v10, vcc_lo
	v_cndmask_b32_e64 v26, 0, -1, s6
	v_subrev_co_ci_u32_e64 v11, null, s29, v13, vcc_lo
	v_sub_co_u32 v12, vcc_lo, v9, s7
	v_subrev_co_ci_u32_e64 v13, null, 0, v11, vcc_lo
	v_cmp_le_u32_e64 s6, s7, v12
	v_subrev_co_ci_u32_e64 v11, null, s29, v11, vcc_lo
	v_cmp_le_u32_e32 vcc_lo, s29, v10
	v_cndmask_b32_e64 v27, 0, -1, s6
	v_cmp_le_u32_e64 s6, s29, v13
	v_cndmask_b32_e64 v29, 0, -1, vcc_lo
	v_cmp_eq_u32_e32 vcc_lo, s29, v13
	v_cndmask_b32_e64 v28, 0, -1, s6
	v_cmp_eq_u32_e64 s6, s29, v10
	v_cndmask_b32_e32 v27, v28, v27, vcc_lo
	v_sub_co_u32 v28, vcc_lo, v12, s7
	v_subrev_co_ci_u32_e64 v11, null, 0, v11, vcc_lo
	v_cmp_ne_u32_e32 vcc_lo, 0, v27
	v_cndmask_b32_e64 v26, v29, v26, s6
	v_cndmask_b32_e32 v11, v13, v11, vcc_lo
	v_cndmask_b32_e32 v12, v12, v28, vcc_lo
	v_cmp_ne_u32_e32 vcc_lo, 0, v26
	v_cndmask_b32_e32 v10, v10, v11, vcc_lo
	v_cndmask_b32_e32 v9, v9, v12, vcc_lo
                                        ; implicit-def: $vgpr11_vgpr12
.LBB9_21:                               ;   in Loop: Header=BB9_14 Depth=1
	s_andn2_saveexec_b32 s6, s28
	s_cbranch_execz .LBB9_23
; %bb.22:                               ;   in Loop: Header=BB9_14 Depth=1
	v_cvt_f32_u32_e32 v9, s7
	s_sub_i32 s28, 0, s7
	v_rcp_iflag_f32_e32 v9, v9
	v_mul_f32_e32 v9, 0x4f7ffffe, v9
	v_cvt_u32_f32_e32 v9, v9
	v_mul_lo_u32 v10, s28, v9
	v_mul_hi_u32 v10, v9, v10
	v_add_nc_u32_e32 v9, v9, v10
	v_mul_hi_u32 v9, v11, v9
	v_mul_lo_u32 v9, v9, s7
	v_sub_nc_u32_e32 v9, v11, v9
	v_subrev_nc_u32_e32 v10, s7, v9
	v_cmp_le_u32_e32 vcc_lo, s7, v9
	v_cndmask_b32_e32 v9, v9, v10, vcc_lo
	v_subrev_nc_u32_e32 v10, s7, v9
	v_cmp_le_u32_e32 vcc_lo, s7, v9
	v_cndmask_b32_e32 v9, v9, v10, vcc_lo
	v_mov_b32_e32 v10, v8
.LBB9_23:                               ;   in Loop: Header=BB9_14 Depth=1
	s_or_b32 exec_lo, exec_lo, s6
	s_mov_b32 s6, 0
                                        ; implicit-def: $sgpr7
                                        ; implicit-def: $vgpr26
	s_branch .LBB9_26
.LBB9_24:                               ;   in Loop: Header=BB9_26 Depth=2
	s_or_b32 exec_lo, exec_lo, s31
	s_xor_b32 s29, s30, -1
	s_andn2_b32 s7, s7, exec_lo
	s_and_b32 s29, s29, exec_lo
	s_or_b32 s7, s7, s29
.LBB9_25:                               ;   in Loop: Header=BB9_26 Depth=2
	s_or_b32 exec_lo, exec_lo, s28
	v_mov_b32_e32 v26, v11
	s_and_b32 s28, exec_lo, s7
	s_or_b32 s6, s28, s6
	s_andn2_b32 exec_lo, exec_lo, s6
	s_cbranch_execz .LBB9_35
.LBB9_26:                               ;   Parent Loop BB9_14 Depth=1
                                        ; =>  This Inner Loop Header: Depth=2
	v_lshlrev_b64 v[9:10], 3, v[9:10]
	v_mov_b32_e32 v11, -1
	s_or_b32 s7, s7, exec_lo
	s_mov_b32 s28, exec_lo
	v_add_co_u32 v9, vcc_lo, s22, v9
	v_add_co_ci_u32_e64 v10, null, s23, v10, vcc_lo
	global_load_dword v9, v[9:10], off offset:4
	s_waitcnt vmcnt(0)
	v_cmpx_ne_u32_e32 -1, v9
	s_cbranch_execz .LBB9_25
; %bb.27:                               ;   in Loop: Header=BB9_26 Depth=2
	v_ashrrev_i32_e32 v10, 31, v9
	s_mov_b32 s30, exec_lo
	v_lshlrev_b64 v[11:12], 3, v[9:10]
	v_add_co_u32 v11, vcc_lo, s22, v11
	v_add_co_ci_u32_e64 v12, null, s23, v12, vcc_lo
	global_load_dword v11, v[11:12], off
	s_waitcnt vmcnt(0)
	v_ashrrev_i32_e32 v12, 31, v11
	v_lshlrev_b64 v[12:13], 2, v[11:12]
	v_add_co_u32 v27, vcc_lo, s10, v12
	v_add_co_ci_u32_e64 v28, null, s11, v13, vcc_lo
	global_load_dword v27, v[27:28], off
	s_waitcnt vmcnt(0)
	v_cmp_ne_u32_e64 s29, v27, v22
	v_cmpx_eq_u32_e64 v27, v22
	s_cbranch_execz .LBB9_33
; %bb.28:                               ;   in Loop: Header=BB9_26 Depth=2
	v_add_co_u32 v27, vcc_lo, s12, v12
	v_add_co_ci_u32_e64 v28, null, s13, v13, vcc_lo
	s_mov_b32 s33, exec_lo
	global_load_dword v27, v[27:28], off
	s_waitcnt vmcnt(0)
	v_cmp_ne_u32_e64 s31, v27, v25
	v_cmpx_eq_u32_e64 v27, v25
	s_cbranch_execz .LBB9_32
; %bb.29:                               ;   in Loop: Header=BB9_26 Depth=2
	v_add_co_u32 v27, vcc_lo, s14, v12
	v_add_co_ci_u32_e64 v28, null, s15, v13, vcc_lo
	s_mov_b32 s35, exec_lo
	global_load_dword v27, v[27:28], off
	s_waitcnt vmcnt(0)
	v_cmp_ne_u32_e64 s34, v27, v23
	v_cmpx_eq_u32_e64 v27, v23
	s_cbranch_execz .LBB9_31
; %bb.30:                               ;   in Loop: Header=BB9_26 Depth=2
	v_add_co_u32 v12, vcc_lo, s16, v12
	v_add_co_ci_u32_e64 v13, null, s17, v13, vcc_lo
	s_andn2_b32 s34, s34, exec_lo
	global_load_dword v12, v[12:13], off
	s_waitcnt vmcnt(0)
	v_cmp_ne_u32_e32 vcc_lo, v12, v24
	s_and_b32 s36, vcc_lo, exec_lo
	s_or_b32 s34, s34, s36
.LBB9_31:                               ;   in Loop: Header=BB9_26 Depth=2
	s_or_b32 exec_lo, exec_lo, s35
	s_andn2_b32 s31, s31, exec_lo
	s_and_b32 s34, s34, exec_lo
	s_or_b32 s31, s31, s34
.LBB9_32:                               ;   in Loop: Header=BB9_26 Depth=2
	s_or_b32 exec_lo, exec_lo, s33
	s_andn2_b32 s29, s29, exec_lo
	s_and_b32 s31, s31, exec_lo
	s_or_b32 s29, s29, s31
.LBB9_33:                               ;   in Loop: Header=BB9_26 Depth=2
	s_or_b32 exec_lo, exec_lo, s30
	s_mov_b32 s30, 0
	s_and_saveexec_b32 s31, s29
	s_cbranch_execz .LBB9_24
; %bb.34:                               ;   in Loop: Header=BB9_26 Depth=2
	v_mov_b32_e32 v11, v26
	s_mov_b32 s30, exec_lo
	s_branch .LBB9_24
.LBB9_35:                               ;   in Loop: Header=BB9_14 Depth=1
	s_or_b32 exec_lo, exec_lo, s6
	v_cmp_ne_u32_e32 vcc_lo, -1, v11
	s_and_b32 exec_lo, exec_lo, vcc_lo
	s_cbranch_execz .LBB9_13
; %bb.36:                               ;   in Loop: Header=BB9_14 Depth=1
	s_lshl_b32 s6, s8, 2
	v_add_nc_u32_e64 v9, s6, 32
	buffer_store_dword v11, v9, s[0:3], 0 offen offset:16
	s_branch .LBB9_13
.LBB9_37:
	s_or_b32 exec_lo, exec_lo, s25
	v_lshl_add_u32 v42, v0, 2, 32
	v_add_nc_u32_e32 v3, 1, v3
	buffer_load_dword v2, v42, s[0:3], 0 offen
	s_waitcnt vmcnt(0)
	v_cmp_ne_u32_e32 vcc_lo, v2, v3
	s_and_b32 exec_lo, exec_lo, vcc_lo
	s_cbranch_execz .LBB9_39
; %bb.38:
	s_clause 0x1
	s_load_dwordx4 s[48:51], s[4:5], 0x48
	s_load_dwordx2 s[38:39], s[4:5], 0x58
	s_mov_b64 s[6:7], src_private_base
	v_mov_b32_e32 v2, s20
	v_mov_b32_e32 v3, s21
	;; [unrolled: 1-line block ×14, first 2 shown]
	s_getpc_b64 s[4:5]
	s_add_u32 s4, s4, _Z10BuildSubgriiPN2rw7LibraryEPimS2_S2_S2_S2_S2_PNS_9TableNodeEi@rel32@lo+4
	s_addc_u32 s5, s5, _Z10BuildSubgriiPN2rw7LibraryEPimS2_S2_S2_S2_S2_PNS_9TableNodeEi@rel32@hi+12
	s_waitcnt lgkmcnt(0)
	v_mov_b32_e32 v16, s50
	v_mov_b32_e32 v17, s51
	;; [unrolled: 1-line block ×4, first 2 shown]
	s_swappc_b64 s[30:31], s[4:5]
	buffer_load_dword v0, v42, s[0:3], 0 offen
	s_waitcnt vmcnt(0)
	v_ashrrev_i32_e32 v1, 31, v0
	v_lshlrev_b64 v[1:2], 2, v[0:1]
	v_lshlrev_b32_e32 v0, 1, v0
	v_add_co_u32 v1, vcc_lo, s50, v1
	v_add_co_ci_u32_e64 v2, null, s51, v2, vcc_lo
	v_add_co_u32 v3, vcc_lo, s50, v40
	v_add_co_ci_u32_e64 v4, null, s51, v41, vcc_lo
	s_clause 0x1
	global_load_dword v1, v[1:2], off
	global_load_dword v2, v[3:4], off offset:4
	s_waitcnt vmcnt(0)
	v_xad_u32 v2, v2, v1, v0
	v_add_co_u32 v0, vcc_lo, s38, v40
	v_add_co_ci_u32_e64 v1, null, s39, v41, vcc_lo
	global_store_dword v[0:1], v2, off offset:4
.LBB9_39:
	s_endpgm
	.section	.rodata,"a",@progbits
	.p2align	6, 0x0
	.amdhsa_kernel _Z12ReplaceSubgriPiS_S_S_S_PN2rw3CutEPNS0_7LibraryEPNS0_9TableNodeES6_S_S_
		.amdhsa_group_segment_fixed_size 0
		.amdhsa_private_segment_fixed_size 368
		.amdhsa_kernarg_size 352
		.amdhsa_user_sgpr_count 8
		.amdhsa_user_sgpr_private_segment_buffer 1
		.amdhsa_user_sgpr_dispatch_ptr 0
		.amdhsa_user_sgpr_queue_ptr 0
		.amdhsa_user_sgpr_kernarg_segment_ptr 1
		.amdhsa_user_sgpr_dispatch_id 0
		.amdhsa_user_sgpr_flat_scratch_init 1
		.amdhsa_user_sgpr_private_segment_size 0
		.amdhsa_wavefront_size32 1
		.amdhsa_uses_dynamic_stack 1
		.amdhsa_system_sgpr_private_segment_wavefront_offset 1
		.amdhsa_system_sgpr_workgroup_id_x 1
		.amdhsa_system_sgpr_workgroup_id_y 0
		.amdhsa_system_sgpr_workgroup_id_z 0
		.amdhsa_system_sgpr_workgroup_info 0
		.amdhsa_system_vgpr_workitem_id 0
		.amdhsa_next_free_vgpr 91
		.amdhsa_next_free_sgpr 52
		.amdhsa_reserve_vcc 1
		.amdhsa_reserve_flat_scratch 1
		.amdhsa_float_round_mode_32 0
		.amdhsa_float_round_mode_16_64 0
		.amdhsa_float_denorm_mode_32 3
		.amdhsa_float_denorm_mode_16_64 3
		.amdhsa_dx10_clamp 1
		.amdhsa_ieee_mode 1
		.amdhsa_fp16_overflow 0
		.amdhsa_workgroup_processor_mode 1
		.amdhsa_memory_ordered 1
		.amdhsa_forward_progress 1
		.amdhsa_shared_vgpr_count 0
		.amdhsa_exception_fp_ieee_invalid_op 0
		.amdhsa_exception_fp_denorm_src 0
		.amdhsa_exception_fp_ieee_div_zero 0
		.amdhsa_exception_fp_ieee_overflow 0
		.amdhsa_exception_fp_ieee_underflow 0
		.amdhsa_exception_fp_ieee_inexact 0
		.amdhsa_exception_int_div_zero 0
	.end_amdhsa_kernel
	.text
.Lfunc_end9:
	.size	_Z12ReplaceSubgriPiS_S_S_S_PN2rw3CutEPNS0_7LibraryEPNS0_9TableNodeES6_S_S_, .Lfunc_end9-_Z12ReplaceSubgriPiS_S_S_S_PN2rw3CutEPNS0_7LibraryEPNS0_9TableNodeES6_S_S_
                                        ; -- End function
	.set _Z12ReplaceSubgriPiS_S_S_S_PN2rw3CutEPNS0_7LibraryEPNS0_9TableNodeES6_S_S_.num_vgpr, max(43, .L_Z10BuildSubgriiPN2rw7LibraryEPimS2_S2_S2_S2_S2_PNS_9TableNodeEi.num_vgpr)
	.set _Z12ReplaceSubgriPiS_S_S_S_PN2rw3CutEPNS0_7LibraryEPNS0_9TableNodeES6_S_S_.num_agpr, max(0, .L_Z10BuildSubgriiPN2rw7LibraryEPimS2_S2_S2_S2_S2_PNS_9TableNodeEi.num_agpr)
	.set _Z12ReplaceSubgriPiS_S_S_S_PN2rw3CutEPNS0_7LibraryEPNS0_9TableNodeES6_S_S_.numbered_sgpr, max(52, .L_Z10BuildSubgriiPN2rw7LibraryEPimS2_S2_S2_S2_S2_PNS_9TableNodeEi.numbered_sgpr)
	.set _Z12ReplaceSubgriPiS_S_S_S_PN2rw3CutEPNS0_7LibraryEPNS0_9TableNodeES6_S_S_.num_named_barrier, max(0, .L_Z10BuildSubgriiPN2rw7LibraryEPimS2_S2_S2_S2_S2_PNS_9TableNodeEi.num_named_barrier)
	.set _Z12ReplaceSubgriPiS_S_S_S_PN2rw3CutEPNS0_7LibraryEPNS0_9TableNodeES6_S_S_.private_seg_size, 256+max(.L_Z10BuildSubgriiPN2rw7LibraryEPimS2_S2_S2_S2_S2_PNS_9TableNodeEi.private_seg_size)
	.set _Z12ReplaceSubgriPiS_S_S_S_PN2rw3CutEPNS0_7LibraryEPNS0_9TableNodeES6_S_S_.uses_vcc, or(1, .L_Z10BuildSubgriiPN2rw7LibraryEPimS2_S2_S2_S2_S2_PNS_9TableNodeEi.uses_vcc)
	.set _Z12ReplaceSubgriPiS_S_S_S_PN2rw3CutEPNS0_7LibraryEPNS0_9TableNodeES6_S_S_.uses_flat_scratch, or(1, .L_Z10BuildSubgriiPN2rw7LibraryEPimS2_S2_S2_S2_S2_PNS_9TableNodeEi.uses_flat_scratch)
	.set _Z12ReplaceSubgriPiS_S_S_S_PN2rw3CutEPNS0_7LibraryEPNS0_9TableNodeES6_S_S_.has_dyn_sized_stack, or(0, .L_Z10BuildSubgriiPN2rw7LibraryEPimS2_S2_S2_S2_S2_PNS_9TableNodeEi.has_dyn_sized_stack)
	.set _Z12ReplaceSubgriPiS_S_S_S_PN2rw3CutEPNS0_7LibraryEPNS0_9TableNodeES6_S_S_.has_recursion, or(1, .L_Z10BuildSubgriiPN2rw7LibraryEPimS2_S2_S2_S2_S2_PNS_9TableNodeEi.has_recursion)
	.set _Z12ReplaceSubgriPiS_S_S_S_PN2rw3CutEPNS0_7LibraryEPNS0_9TableNodeES6_S_S_.has_indirect_call, or(0, .L_Z10BuildSubgriiPN2rw7LibraryEPimS2_S2_S2_S2_S2_PNS_9TableNodeEi.has_indirect_call)
	.section	.AMDGPU.csdata,"",@progbits
; Kernel info:
; codeLenInByte = 3424
; TotalNumSgprs: 54
; NumVgprs: 91
; ScratchSize: 368
; MemoryBound: 0
; FloatMode: 240
; IeeeMode: 1
; LDSByteSize: 0 bytes/workgroup (compile time only)
; SGPRBlocks: 0
; VGPRBlocks: 11
; NumSGPRsForWavesPerEU: 54
; NumVGPRsForWavesPerEU: 91
; Occupancy: 10
; WaveLimiterHint : 1
; COMPUTE_PGM_RSRC2:SCRATCH_EN: 1
; COMPUTE_PGM_RSRC2:USER_SGPR: 8
; COMPUTE_PGM_RSRC2:TRAP_HANDLER: 0
; COMPUTE_PGM_RSRC2:TGID_X_EN: 1
; COMPUTE_PGM_RSRC2:TGID_Y_EN: 0
; COMPUTE_PGM_RSRC2:TGID_Z_EN: 0
; COMPUTE_PGM_RSRC2:TIDIG_COMP_CNT: 0
	.text
	.protected	_Z15DetachAndAttachiPiS_S_ ; -- Begin function _Z15DetachAndAttachiPiS_S_
	.globl	_Z15DetachAndAttachiPiS_S_
	.p2align	8
	.type	_Z15DetachAndAttachiPiS_S_,@function
_Z15DetachAndAttachiPiS_S_:             ; @_Z15DetachAndAttachiPiS_S_
; %bb.0:
	s_clause 0x1
	s_load_dword s0, s[4:5], 0x2c
	s_load_dword s1, s[4:5], 0x0
	s_waitcnt lgkmcnt(0)
	s_and_b32 s0, s0, 0xffff
	v_mad_u64_u32 v[0:1], null, s6, s0, v[0:1]
	s_mov_b32 s0, exec_lo
	v_cmpx_gt_u32_e64 s1, v0
	s_cbranch_execz .LBB10_3
; %bb.1:
	s_load_dwordx2 s[0:1], s[4:5], 0x18
	v_ashrrev_i32_e32 v1, 31, v0
	v_lshlrev_b64 v[0:1], 2, v[0:1]
	s_waitcnt lgkmcnt(0)
	v_add_co_u32 v2, vcc_lo, s0, v0
	v_add_co_ci_u32_e64 v3, null, s1, v1, vcc_lo
	global_load_dword v4, v[2:3], off offset:4
	s_waitcnt vmcnt(0)
	v_cmp_ne_u32_e32 vcc_lo, -1, v4
	s_and_b32 exec_lo, exec_lo, vcc_lo
	s_cbranch_execz .LBB10_3
; %bb.2:
	s_load_dwordx4 s[0:3], s[4:5], 0x8
	v_mov_b32_e32 v6, 1
	s_waitcnt lgkmcnt(0)
	v_add_co_u32 v4, vcc_lo, s0, v0
	v_add_co_ci_u32_e64 v5, null, s1, v1, vcc_lo
	v_add_co_u32 v0, vcc_lo, s2, v0
	v_add_co_ci_u32_e64 v1, null, s3, v1, vcc_lo
	global_store_dword v[4:5], v6, off offset:4
	global_load_dword v2, v[2:3], off offset:4
	s_waitcnt vmcnt(0)
	global_store_dword v[0:1], v2, off offset:4
.LBB10_3:
	s_endpgm
	.section	.rodata,"a",@progbits
	.p2align	6, 0x0
	.amdhsa_kernel _Z15DetachAndAttachiPiS_S_
		.amdhsa_group_segment_fixed_size 0
		.amdhsa_private_segment_fixed_size 0
		.amdhsa_kernarg_size 288
		.amdhsa_user_sgpr_count 6
		.amdhsa_user_sgpr_private_segment_buffer 1
		.amdhsa_user_sgpr_dispatch_ptr 0
		.amdhsa_user_sgpr_queue_ptr 0
		.amdhsa_user_sgpr_kernarg_segment_ptr 1
		.amdhsa_user_sgpr_dispatch_id 0
		.amdhsa_user_sgpr_flat_scratch_init 0
		.amdhsa_user_sgpr_private_segment_size 0
		.amdhsa_wavefront_size32 1
		.amdhsa_uses_dynamic_stack 0
		.amdhsa_system_sgpr_private_segment_wavefront_offset 0
		.amdhsa_system_sgpr_workgroup_id_x 1
		.amdhsa_system_sgpr_workgroup_id_y 0
		.amdhsa_system_sgpr_workgroup_id_z 0
		.amdhsa_system_sgpr_workgroup_info 0
		.amdhsa_system_vgpr_workitem_id 0
		.amdhsa_next_free_vgpr 7
		.amdhsa_next_free_sgpr 7
		.amdhsa_reserve_vcc 1
		.amdhsa_reserve_flat_scratch 0
		.amdhsa_float_round_mode_32 0
		.amdhsa_float_round_mode_16_64 0
		.amdhsa_float_denorm_mode_32 3
		.amdhsa_float_denorm_mode_16_64 3
		.amdhsa_dx10_clamp 1
		.amdhsa_ieee_mode 1
		.amdhsa_fp16_overflow 0
		.amdhsa_workgroup_processor_mode 1
		.amdhsa_memory_ordered 1
		.amdhsa_forward_progress 1
		.amdhsa_shared_vgpr_count 0
		.amdhsa_exception_fp_ieee_invalid_op 0
		.amdhsa_exception_fp_denorm_src 0
		.amdhsa_exception_fp_ieee_div_zero 0
		.amdhsa_exception_fp_ieee_overflow 0
		.amdhsa_exception_fp_ieee_underflow 0
		.amdhsa_exception_fp_ieee_inexact 0
		.amdhsa_exception_int_div_zero 0
	.end_amdhsa_kernel
	.text
.Lfunc_end10:
	.size	_Z15DetachAndAttachiPiS_S_, .Lfunc_end10-_Z15DetachAndAttachiPiS_S_
                                        ; -- End function
	.set _Z15DetachAndAttachiPiS_S_.num_vgpr, 7
	.set _Z15DetachAndAttachiPiS_S_.num_agpr, 0
	.set _Z15DetachAndAttachiPiS_S_.numbered_sgpr, 7
	.set _Z15DetachAndAttachiPiS_S_.num_named_barrier, 0
	.set _Z15DetachAndAttachiPiS_S_.private_seg_size, 0
	.set _Z15DetachAndAttachiPiS_S_.uses_vcc, 1
	.set _Z15DetachAndAttachiPiS_S_.uses_flat_scratch, 0
	.set _Z15DetachAndAttachiPiS_S_.has_dyn_sized_stack, 0
	.set _Z15DetachAndAttachiPiS_S_.has_recursion, 0
	.set _Z15DetachAndAttachiPiS_S_.has_indirect_call, 0
	.section	.AMDGPU.csdata,"",@progbits
; Kernel info:
; codeLenInByte = 200
; TotalNumSgprs: 9
; NumVgprs: 7
; ScratchSize: 0
; MemoryBound: 0
; FloatMode: 240
; IeeeMode: 1
; LDSByteSize: 0 bytes/workgroup (compile time only)
; SGPRBlocks: 0
; VGPRBlocks: 0
; NumSGPRsForWavesPerEU: 9
; NumVGPRsForWavesPerEU: 7
; Occupancy: 16
; WaveLimiterHint : 0
; COMPUTE_PGM_RSRC2:SCRATCH_EN: 0
; COMPUTE_PGM_RSRC2:USER_SGPR: 6
; COMPUTE_PGM_RSRC2:TRAP_HANDLER: 0
; COMPUTE_PGM_RSRC2:TGID_X_EN: 1
; COMPUTE_PGM_RSRC2:TGID_Y_EN: 0
; COMPUTE_PGM_RSRC2:TGID_Z_EN: 0
; COMPUTE_PGM_RSRC2:TIDIG_COMP_CNT: 0
	.text
	.protected	_Z9printCutsiPN2rw3CutE ; -- Begin function _Z9printCutsiPN2rw3CutE
	.globl	_Z9printCutsiPN2rw3CutE
	.p2align	8
	.type	_Z9printCutsiPN2rw3CutE,@function
_Z9printCutsiPN2rw3CutE:                ; @_Z9printCutsiPN2rw3CutE
; %bb.0:
	s_clause 0x2
	s_load_dword s6, s[4:5], 0x0
	s_load_dwordx2 s[2:3], s[4:5], 0x8
	s_load_dwordx2 s[4:5], s[4:5], 0x60
	v_mbcnt_lo_u32_b32 v40, -1, 0
	v_mov_b32_e32 v1, 0
	s_mov_b32 s8, 0
	s_getpc_b64 s[0:1]
	s_add_u32 s0, s0, .str.3@rel32@lo+4
	s_addc_u32 s1, s1, .str.3@rel32@hi+12
	s_mov_b32 s9, s8
	s_mov_b32 s10, s8
	;; [unrolled: 1-line block ×3, first 2 shown]
	v_mov_b32_e32 v8, s8
	v_mov_b32_e32 v2, 2
	;; [unrolled: 1-line block ×7, first 2 shown]
	v_lshlrev_b32_e32 v41, 6, v40
	v_mov_b32_e32 v5, v1
	v_mov_b32_e32 v6, v1
	;; [unrolled: 1-line block ×3, first 2 shown]
	s_waitcnt lgkmcnt(0)
	s_lshl_b32 s20, s6, 3
	s_cmp_lg_u64 s[0:1], 0
	s_mov_b32 s22, s8
	s_cselect_b32 s21, -1, 0
	s_branch .LBB11_2
.LBB11_1:                               ;   in Loop: Header=BB11_2 Depth=1
	s_or_b32 exec_lo, exec_lo, s12
	s_add_i32 s22, s22, 1
	s_cmp_eq_u32 s22, 8
	s_cbranch_scc1 .LBB11_343
.LBB11_2:                               ; =>This Loop Header: Depth=1
                                        ;     Child Loop BB11_5 Depth 2
                                        ;     Child Loop BB11_13 Depth 2
	;; [unrolled: 1-line block ×9, first 2 shown]
                                        ;       Child Loop BB11_34 Depth 3
                                        ;       Child Loop BB11_41 Depth 3
	;; [unrolled: 1-line block ×11, first 2 shown]
                                        ;     Child Loop BB11_138 Depth 2
                                        ;     Child Loop BB11_146 Depth 2
	;; [unrolled: 1-line block ×32, first 2 shown]
	s_add_i32 s0, s22, s20
	v_mov_b32_e32 v20, 0
	s_mul_i32 s1, s0, 28
	s_mul_hi_i32 s6, s0, 28
	s_add_u32 s0, s2, s1
	s_addc_u32 s1, s3, s6
	v_mov_b32_e32 v21, 0
	s_clause 0x2
	global_load_dword v42, v1, s[0:1] offset:20
	global_load_ubyte v43, v1, s[0:1] offset:24
	global_load_dwordx4 v[12:15], v1, s[0:1] offset:4
	v_readfirstlane_b32 s0, v40
	v_cmp_eq_u32_e64 s0, s0, v40
	s_and_saveexec_b32 s1, s0
	s_cbranch_execz .LBB11_8
; %bb.3:                                ;   in Loop: Header=BB11_2 Depth=1
	global_load_dwordx2 v[18:19], v1, s[4:5] offset:24 glc dlc
	s_waitcnt vmcnt(0)
	buffer_gl1_inv
	buffer_gl0_inv
	s_clause 0x1
	global_load_dwordx2 v[16:17], v1, s[4:5] offset:40
	global_load_dwordx2 v[20:21], v1, s[4:5]
	s_mov_b32 s6, exec_lo
	s_waitcnt vmcnt(1)
	v_and_b32_e32 v0, v17, v19
	v_and_b32_e32 v16, v16, v18
	v_mul_lo_u32 v0, v0, 24
	v_mul_hi_u32 v17, v16, 24
	v_mul_lo_u32 v16, v16, 24
	v_add_nc_u32_e32 v0, v17, v0
	s_waitcnt vmcnt(0)
	v_add_co_u32 v16, vcc_lo, v20, v16
	v_add_co_ci_u32_e64 v17, null, v21, v0, vcc_lo
	global_load_dwordx2 v[16:17], v[16:17], off glc dlc
	s_waitcnt vmcnt(0)
	global_atomic_cmpswap_x2 v[20:21], v1, v[16:19], s[4:5] offset:24 glc
	s_waitcnt vmcnt(0)
	buffer_gl1_inv
	buffer_gl0_inv
	v_cmpx_ne_u64_e64 v[20:21], v[18:19]
	s_cbranch_execz .LBB11_7
; %bb.4:                                ;   in Loop: Header=BB11_2 Depth=1
	s_mov_b32 s7, 0
	.p2align	6
.LBB11_5:                               ;   Parent Loop BB11_2 Depth=1
                                        ; =>  This Inner Loop Header: Depth=2
	s_sleep 1
	s_clause 0x1
	global_load_dwordx2 v[16:17], v1, s[4:5] offset:40
	global_load_dwordx2 v[22:23], v1, s[4:5]
	v_mov_b32_e32 v18, v20
	v_mov_b32_e32 v19, v21
	s_waitcnt vmcnt(1)
	v_and_b32_e32 v0, v16, v18
	v_and_b32_e32 v16, v17, v19
	s_waitcnt vmcnt(0)
	v_mad_u64_u32 v[20:21], null, v0, 24, v[22:23]
	v_mov_b32_e32 v0, v21
	v_mad_u64_u32 v[16:17], null, v16, 24, v[0:1]
	v_mov_b32_e32 v21, v16
	global_load_dwordx2 v[16:17], v[20:21], off glc dlc
	s_waitcnt vmcnt(0)
	global_atomic_cmpswap_x2 v[20:21], v1, v[16:19], s[4:5] offset:24 glc
	s_waitcnt vmcnt(0)
	buffer_gl1_inv
	buffer_gl0_inv
	v_cmp_eq_u64_e32 vcc_lo, v[20:21], v[18:19]
	s_or_b32 s7, vcc_lo, s7
	s_andn2_b32 exec_lo, exec_lo, s7
	s_cbranch_execnz .LBB11_5
; %bb.6:                                ;   in Loop: Header=BB11_2 Depth=1
	s_or_b32 exec_lo, exec_lo, s7
.LBB11_7:                               ;   in Loop: Header=BB11_2 Depth=1
	s_or_b32 exec_lo, exec_lo, s6
.LBB11_8:                               ;   in Loop: Header=BB11_2 Depth=1
	s_or_b32 exec_lo, exec_lo, s1
	s_clause 0x1
	global_load_dwordx2 v[22:23], v1, s[4:5] offset:40
	global_load_dwordx4 v[16:19], v1, s[4:5]
	v_readfirstlane_b32 s7, v21
	v_readfirstlane_b32 s6, v20
	s_mov_b32 s1, exec_lo
	s_waitcnt vmcnt(1)
	v_readfirstlane_b32 s12, v22
	v_readfirstlane_b32 s13, v23
	s_and_b64 s[12:13], s[12:13], s[6:7]
	s_mul_i32 s14, s13, 24
	s_mul_hi_u32 s15, s12, 24
	s_mul_i32 s16, s12, 24
	s_add_i32 s15, s15, s14
	s_waitcnt vmcnt(0)
	v_add_co_u32 v20, vcc_lo, v16, s16
	v_add_co_ci_u32_e64 v21, null, s15, v17, vcc_lo
	s_and_saveexec_b32 s14, s0
	s_cbranch_execz .LBB11_10
; %bb.9:                                ;   in Loop: Header=BB11_2 Depth=1
	v_mov_b32_e32 v0, s1
	global_store_dwordx4 v[20:21], v[0:3], off offset:8
.LBB11_10:                              ;   in Loop: Header=BB11_2 Depth=1
	s_or_b32 exec_lo, exec_lo, s14
	s_lshl_b64 s[12:13], s[12:13], 12
	v_add_co_u32 v24, vcc_lo, v18, s12
	v_add_co_ci_u32_e64 v25, null, s13, v19, vcc_lo
	v_readfirstlane_b32 s12, v24
	v_readfirstlane_b32 s13, v25
	global_store_dwordx4 v41, v[4:7], s[12:13]
	global_store_dwordx4 v41, v[8:11], s[12:13] offset:16
	global_store_dwordx4 v41, v[8:11], s[12:13] offset:32
	;; [unrolled: 1-line block ×3, first 2 shown]
	s_and_saveexec_b32 s1, s0
	s_cbranch_execz .LBB11_18
; %bb.11:                               ;   in Loop: Header=BB11_2 Depth=1
	s_clause 0x1
	global_load_dwordx2 v[28:29], v1, s[4:5] offset:32 glc dlc
	global_load_dwordx2 v[18:19], v1, s[4:5] offset:40
	v_mov_b32_e32 v26, s6
	v_mov_b32_e32 v27, s7
	s_waitcnt vmcnt(0)
	v_readfirstlane_b32 s12, v18
	v_readfirstlane_b32 s13, v19
	s_and_b64 s[12:13], s[12:13], s[6:7]
	s_mul_i32 s13, s13, 24
	s_mul_hi_u32 s14, s12, 24
	s_mul_i32 s12, s12, 24
	s_add_i32 s14, s14, s13
	v_add_co_u32 v22, vcc_lo, v16, s12
	v_add_co_ci_u32_e64 v23, null, s14, v17, vcc_lo
	s_mov_b32 s12, exec_lo
	global_store_dwordx2 v[22:23], v[28:29], off
	s_waitcnt_vscnt null, 0x0
	global_atomic_cmpswap_x2 v[18:19], v1, v[26:29], s[4:5] offset:32 glc
	s_waitcnt vmcnt(0)
	v_cmpx_ne_u64_e64 v[18:19], v[28:29]
	s_cbranch_execz .LBB11_14
; %bb.12:                               ;   in Loop: Header=BB11_2 Depth=1
	s_mov_b32 s13, 0
.LBB11_13:                              ;   Parent Loop BB11_2 Depth=1
                                        ; =>  This Inner Loop Header: Depth=2
	v_mov_b32_e32 v16, s6
	v_mov_b32_e32 v17, s7
	s_sleep 1
	global_store_dwordx2 v[22:23], v[18:19], off
	s_waitcnt_vscnt null, 0x0
	global_atomic_cmpswap_x2 v[16:17], v1, v[16:19], s[4:5] offset:32 glc
	s_waitcnt vmcnt(0)
	v_cmp_eq_u64_e32 vcc_lo, v[16:17], v[18:19]
	v_mov_b32_e32 v19, v17
	v_mov_b32_e32 v18, v16
	s_or_b32 s13, vcc_lo, s13
	s_andn2_b32 exec_lo, exec_lo, s13
	s_cbranch_execnz .LBB11_13
.LBB11_14:                              ;   in Loop: Header=BB11_2 Depth=1
	s_or_b32 exec_lo, exec_lo, s12
	global_load_dwordx2 v[16:17], v1, s[4:5] offset:16
	s_mov_b32 s13, exec_lo
	s_mov_b32 s12, exec_lo
	v_mbcnt_lo_u32_b32 v0, s13, 0
	v_cmpx_eq_u32_e32 0, v0
	s_cbranch_execz .LBB11_16
; %bb.15:                               ;   in Loop: Header=BB11_2 Depth=1
	s_bcnt1_i32_b32 s13, s13
	v_mov_b32_e32 v0, s13
	s_waitcnt vmcnt(0)
	global_atomic_add_x2 v[16:17], v[0:1], off offset:8
.LBB11_16:                              ;   in Loop: Header=BB11_2 Depth=1
	s_or_b32 exec_lo, exec_lo, s12
	s_waitcnt vmcnt(0)
	global_load_dwordx2 v[18:19], v[16:17], off offset:16
	s_waitcnt vmcnt(0)
	v_cmp_eq_u64_e32 vcc_lo, 0, v[18:19]
	s_cbranch_vccnz .LBB11_18
; %bb.17:                               ;   in Loop: Header=BB11_2 Depth=1
	global_load_dword v0, v[16:17], off offset:24
	s_waitcnt vmcnt(0)
	v_readfirstlane_b32 s12, v0
	s_waitcnt_vscnt null, 0x0
	global_store_dwordx2 v[18:19], v[0:1], off
	s_and_b32 m0, s12, 0x7fffff
	s_sendmsg sendmsg(MSG_INTERRUPT)
.LBB11_18:                              ;   in Loop: Header=BB11_2 Depth=1
	s_or_b32 exec_lo, exec_lo, s1
	v_add_co_u32 v16, vcc_lo, v24, v41
	v_add_co_ci_u32_e64 v17, null, 0, v25, vcc_lo
	s_branch .LBB11_22
	.p2align	6
.LBB11_19:                              ;   in Loop: Header=BB11_22 Depth=2
	s_or_b32 exec_lo, exec_lo, s1
	v_readfirstlane_b32 s1, v0
	s_cmp_eq_u32 s1, 0
	s_cbranch_scc1 .LBB11_21
; %bb.20:                               ;   in Loop: Header=BB11_22 Depth=2
	s_sleep 1
	s_cbranch_execnz .LBB11_22
	s_branch .LBB11_24
	.p2align	6
.LBB11_21:                              ;   in Loop: Header=BB11_2 Depth=1
	s_branch .LBB11_24
.LBB11_22:                              ;   Parent Loop BB11_2 Depth=1
                                        ; =>  This Inner Loop Header: Depth=2
	v_mov_b32_e32 v0, 1
	s_and_saveexec_b32 s1, s0
	s_cbranch_execz .LBB11_19
; %bb.23:                               ;   in Loop: Header=BB11_22 Depth=2
	global_load_dword v0, v[20:21], off offset:20 glc dlc
	s_waitcnt vmcnt(0)
	buffer_gl1_inv
	buffer_gl0_inv
	v_and_b32_e32 v0, 1, v0
	s_branch .LBB11_19
.LBB11_24:                              ;   in Loop: Header=BB11_2 Depth=1
	global_load_dwordx2 v[16:17], v[16:17], off
	s_and_saveexec_b32 s12, s0
	s_cbranch_execz .LBB11_28
; %bb.25:                               ;   in Loop: Header=BB11_2 Depth=1
	s_clause 0x2
	global_load_dwordx2 v[18:19], v1, s[4:5] offset:40
	global_load_dwordx2 v[26:27], v1, s[4:5] offset:24 glc dlc
	global_load_dwordx2 v[20:21], v1, s[4:5]
	s_waitcnt vmcnt(2)
	v_readfirstlane_b32 s14, v18
	v_readfirstlane_b32 s15, v19
	s_add_u32 s13, s14, 1
	s_addc_u32 s16, s15, 0
	s_add_u32 s0, s13, s6
	s_addc_u32 s1, s16, s7
	s_cmp_eq_u64 s[0:1], 0
	s_cselect_b32 s1, s16, s1
	s_cselect_b32 s0, s13, s0
	v_mov_b32_e32 v25, s1
	s_and_b64 s[6:7], s[0:1], s[14:15]
	v_mov_b32_e32 v24, s0
	s_mul_i32 s7, s7, 24
	s_mul_hi_u32 s13, s6, 24
	s_mul_i32 s6, s6, 24
	s_add_i32 s13, s13, s7
	s_waitcnt vmcnt(0)
	v_add_co_u32 v22, vcc_lo, v20, s6
	v_add_co_ci_u32_e64 v23, null, s13, v21, vcc_lo
	global_store_dwordx2 v[22:23], v[26:27], off
	s_waitcnt_vscnt null, 0x0
	global_atomic_cmpswap_x2 v[20:21], v1, v[24:27], s[4:5] offset:24 glc
	s_waitcnt vmcnt(0)
	v_cmp_ne_u64_e32 vcc_lo, v[20:21], v[26:27]
	s_and_b32 exec_lo, exec_lo, vcc_lo
	s_cbranch_execz .LBB11_28
; %bb.26:                               ;   in Loop: Header=BB11_2 Depth=1
	s_mov_b32 s6, 0
.LBB11_27:                              ;   Parent Loop BB11_2 Depth=1
                                        ; =>  This Inner Loop Header: Depth=2
	v_mov_b32_e32 v18, s0
	v_mov_b32_e32 v19, s1
	s_sleep 1
	global_store_dwordx2 v[22:23], v[20:21], off
	s_waitcnt_vscnt null, 0x0
	global_atomic_cmpswap_x2 v[18:19], v1, v[18:21], s[4:5] offset:24 glc
	s_waitcnt vmcnt(0)
	v_cmp_eq_u64_e32 vcc_lo, v[18:19], v[20:21]
	v_mov_b32_e32 v21, v19
	v_mov_b32_e32 v20, v18
	s_or_b32 s6, vcc_lo, s6
	s_andn2_b32 exec_lo, exec_lo, s6
	s_cbranch_execnz .LBB11_27
.LBB11_28:                              ;   in Loop: Header=BB11_2 Depth=1
	s_or_b32 exec_lo, exec_lo, s12
	s_and_b32 vcc_lo, exec_lo, s21
	s_cbranch_vccz .LBB11_107
; %bb.29:                               ;   in Loop: Header=BB11_2 Depth=1
	s_waitcnt vmcnt(0)
	v_and_b32_e32 v44, 2, v16
	v_and_b32_e32 v18, -3, v16
	v_mov_b32_e32 v19, v17
	s_mov_b64 s[6:7], 0x47
	s_getpc_b64 s[12:13]
	s_add_u32 s12, s12, .str.3@rel32@lo+4
	s_addc_u32 s13, s13, .str.3@rel32@hi+12
	s_branch .LBB11_31
.LBB11_30:                              ;   in Loop: Header=BB11_31 Depth=2
	s_or_b32 exec_lo, exec_lo, s18
	s_sub_u32 s6, s6, s14
	s_subb_u32 s7, s7, s15
	s_add_u32 s12, s12, s14
	s_addc_u32 s13, s13, s15
	s_cmp_lg_u64 s[6:7], 0
	s_cbranch_scc0 .LBB11_106
.LBB11_31:                              ;   Parent Loop BB11_2 Depth=1
                                        ; =>  This Loop Header: Depth=2
                                        ;       Child Loop BB11_34 Depth 3
                                        ;       Child Loop BB11_41 Depth 3
	;; [unrolled: 1-line block ×11, first 2 shown]
	v_cmp_lt_u64_e64 s0, s[6:7], 56
	v_cmp_gt_u64_e64 s16, s[6:7], 7
	s_and_b32 s0, s0, exec_lo
	s_cselect_b32 s15, s7, 0
	s_cselect_b32 s14, s6, 56
	s_add_u32 s0, s12, 8
	s_addc_u32 s1, s13, 0
	s_and_b32 vcc_lo, exec_lo, s16
	s_cbranch_vccnz .LBB11_36
; %bb.32:                               ;   in Loop: Header=BB11_31 Depth=2
	v_mov_b32_e32 v20, 0
	v_mov_b32_e32 v21, 0
	s_cmp_eq_u64 s[6:7], 0
	s_cbranch_scc1 .LBB11_35
; %bb.33:                               ;   in Loop: Header=BB11_31 Depth=2
	s_lshl_b64 s[0:1], s[14:15], 3
	s_mov_b64 s[16:17], 0
	s_mov_b64 s[18:19], s[12:13]
.LBB11_34:                              ;   Parent Loop BB11_2 Depth=1
                                        ;     Parent Loop BB11_31 Depth=2
                                        ; =>    This Inner Loop Header: Depth=3
	global_load_ubyte v0, v1, s[18:19]
	s_waitcnt vmcnt(0)
	v_and_b32_e32 v0, 0xffff, v0
	v_lshlrev_b64 v[22:23], s16, v[0:1]
	s_add_u32 s16, s16, 8
	s_addc_u32 s17, s17, 0
	s_add_u32 s18, s18, 1
	s_addc_u32 s19, s19, 0
	s_cmp_lg_u32 s0, s16
	v_or_b32_e32 v20, v22, v20
	v_or_b32_e32 v21, v23, v21
	s_cbranch_scc1 .LBB11_34
.LBB11_35:                              ;   in Loop: Header=BB11_31 Depth=2
	s_mov_b64 s[0:1], s[12:13]
	s_mov_b32 s23, 0
	s_cbranch_execz .LBB11_37
	s_branch .LBB11_38
.LBB11_36:                              ;   in Loop: Header=BB11_31 Depth=2
	s_mov_b32 s23, 0
.LBB11_37:                              ;   in Loop: Header=BB11_31 Depth=2
	global_load_dwordx2 v[20:21], v1, s[12:13]
	s_add_i32 s23, s14, -8
.LBB11_38:                              ;   in Loop: Header=BB11_31 Depth=2
	s_add_u32 s16, s0, 8
	s_addc_u32 s17, s1, 0
	s_cmp_gt_u32 s23, 7
	s_cbranch_scc1 .LBB11_43
; %bb.39:                               ;   in Loop: Header=BB11_31 Depth=2
	v_mov_b32_e32 v22, 0
	v_mov_b32_e32 v23, 0
	s_cmp_eq_u32 s23, 0
	s_cbranch_scc1 .LBB11_42
; %bb.40:                               ;   in Loop: Header=BB11_31 Depth=2
	s_mov_b64 s[16:17], 0
	s_mov_b64 s[18:19], 0
.LBB11_41:                              ;   Parent Loop BB11_2 Depth=1
                                        ;     Parent Loop BB11_31 Depth=2
                                        ; =>    This Inner Loop Header: Depth=3
	s_add_u32 s24, s0, s18
	s_addc_u32 s25, s1, s19
	s_add_u32 s18, s18, 1
	global_load_ubyte v0, v1, s[24:25]
	s_addc_u32 s19, s19, 0
	s_waitcnt vmcnt(0)
	v_and_b32_e32 v0, 0xffff, v0
	v_lshlrev_b64 v[24:25], s16, v[0:1]
	s_add_u32 s16, s16, 8
	s_addc_u32 s17, s17, 0
	s_cmp_lg_u32 s23, s18
	v_or_b32_e32 v22, v24, v22
	v_or_b32_e32 v23, v25, v23
	s_cbranch_scc1 .LBB11_41
.LBB11_42:                              ;   in Loop: Header=BB11_31 Depth=2
	s_mov_b64 s[16:17], s[0:1]
	s_mov_b32 s24, 0
	s_cbranch_execz .LBB11_44
	s_branch .LBB11_45
.LBB11_43:                              ;   in Loop: Header=BB11_31 Depth=2
                                        ; implicit-def: $vgpr22_vgpr23
	s_mov_b32 s24, 0
.LBB11_44:                              ;   in Loop: Header=BB11_31 Depth=2
	global_load_dwordx2 v[22:23], v1, s[0:1]
	s_add_i32 s24, s23, -8
.LBB11_45:                              ;   in Loop: Header=BB11_31 Depth=2
	s_add_u32 s0, s16, 8
	s_addc_u32 s1, s17, 0
	s_cmp_gt_u32 s24, 7
	s_cbranch_scc1 .LBB11_50
; %bb.46:                               ;   in Loop: Header=BB11_31 Depth=2
	v_mov_b32_e32 v24, 0
	v_mov_b32_e32 v25, 0
	s_cmp_eq_u32 s24, 0
	s_cbranch_scc1 .LBB11_49
; %bb.47:                               ;   in Loop: Header=BB11_31 Depth=2
	s_mov_b64 s[0:1], 0
	s_mov_b64 s[18:19], 0
.LBB11_48:                              ;   Parent Loop BB11_2 Depth=1
                                        ;     Parent Loop BB11_31 Depth=2
                                        ; =>    This Inner Loop Header: Depth=3
	s_add_u32 s26, s16, s18
	s_addc_u32 s27, s17, s19
	s_add_u32 s18, s18, 1
	global_load_ubyte v0, v1, s[26:27]
	s_addc_u32 s19, s19, 0
	s_waitcnt vmcnt(0)
	v_and_b32_e32 v0, 0xffff, v0
	v_lshlrev_b64 v[26:27], s0, v[0:1]
	s_add_u32 s0, s0, 8
	s_addc_u32 s1, s1, 0
	s_cmp_lg_u32 s24, s18
	v_or_b32_e32 v24, v26, v24
	v_or_b32_e32 v25, v27, v25
	s_cbranch_scc1 .LBB11_48
.LBB11_49:                              ;   in Loop: Header=BB11_31 Depth=2
	s_mov_b64 s[0:1], s[16:17]
	s_mov_b32 s23, 0
	s_cbranch_execz .LBB11_51
	s_branch .LBB11_52
.LBB11_50:                              ;   in Loop: Header=BB11_31 Depth=2
	s_mov_b32 s23, 0
.LBB11_51:                              ;   in Loop: Header=BB11_31 Depth=2
	global_load_dwordx2 v[24:25], v1, s[16:17]
	s_add_i32 s23, s24, -8
.LBB11_52:                              ;   in Loop: Header=BB11_31 Depth=2
	s_add_u32 s16, s0, 8
	s_addc_u32 s17, s1, 0
	s_cmp_gt_u32 s23, 7
	s_cbranch_scc1 .LBB11_57
; %bb.53:                               ;   in Loop: Header=BB11_31 Depth=2
	v_mov_b32_e32 v26, 0
	v_mov_b32_e32 v27, 0
	s_cmp_eq_u32 s23, 0
	s_cbranch_scc1 .LBB11_56
; %bb.54:                               ;   in Loop: Header=BB11_31 Depth=2
	s_mov_b64 s[16:17], 0
	s_mov_b64 s[18:19], 0
.LBB11_55:                              ;   Parent Loop BB11_2 Depth=1
                                        ;     Parent Loop BB11_31 Depth=2
                                        ; =>    This Inner Loop Header: Depth=3
	s_add_u32 s24, s0, s18
	s_addc_u32 s25, s1, s19
	s_add_u32 s18, s18, 1
	global_load_ubyte v0, v1, s[24:25]
	s_addc_u32 s19, s19, 0
	s_waitcnt vmcnt(0)
	v_and_b32_e32 v0, 0xffff, v0
	v_lshlrev_b64 v[28:29], s16, v[0:1]
	s_add_u32 s16, s16, 8
	s_addc_u32 s17, s17, 0
	s_cmp_lg_u32 s23, s18
	v_or_b32_e32 v26, v28, v26
	v_or_b32_e32 v27, v29, v27
	s_cbranch_scc1 .LBB11_55
.LBB11_56:                              ;   in Loop: Header=BB11_31 Depth=2
	s_mov_b64 s[16:17], s[0:1]
	s_mov_b32 s24, 0
	s_cbranch_execz .LBB11_58
	s_branch .LBB11_59
.LBB11_57:                              ;   in Loop: Header=BB11_31 Depth=2
                                        ; implicit-def: $vgpr26_vgpr27
	s_mov_b32 s24, 0
.LBB11_58:                              ;   in Loop: Header=BB11_31 Depth=2
	global_load_dwordx2 v[26:27], v1, s[0:1]
	s_add_i32 s24, s23, -8
.LBB11_59:                              ;   in Loop: Header=BB11_31 Depth=2
	s_add_u32 s0, s16, 8
	s_addc_u32 s1, s17, 0
	s_cmp_gt_u32 s24, 7
	s_cbranch_scc1 .LBB11_64
; %bb.60:                               ;   in Loop: Header=BB11_31 Depth=2
	v_mov_b32_e32 v28, 0
	v_mov_b32_e32 v29, 0
	s_cmp_eq_u32 s24, 0
	s_cbranch_scc1 .LBB11_63
; %bb.61:                               ;   in Loop: Header=BB11_31 Depth=2
	s_mov_b64 s[0:1], 0
	s_mov_b64 s[18:19], 0
.LBB11_62:                              ;   Parent Loop BB11_2 Depth=1
                                        ;     Parent Loop BB11_31 Depth=2
                                        ; =>    This Inner Loop Header: Depth=3
	s_add_u32 s26, s16, s18
	s_addc_u32 s27, s17, s19
	s_add_u32 s18, s18, 1
	global_load_ubyte v0, v1, s[26:27]
	s_addc_u32 s19, s19, 0
	s_waitcnt vmcnt(0)
	v_and_b32_e32 v0, 0xffff, v0
	v_lshlrev_b64 v[30:31], s0, v[0:1]
	s_add_u32 s0, s0, 8
	s_addc_u32 s1, s1, 0
	s_cmp_lg_u32 s24, s18
	v_or_b32_e32 v28, v30, v28
	v_or_b32_e32 v29, v31, v29
	s_cbranch_scc1 .LBB11_62
.LBB11_63:                              ;   in Loop: Header=BB11_31 Depth=2
	s_mov_b64 s[0:1], s[16:17]
	s_mov_b32 s23, 0
	s_cbranch_execz .LBB11_65
	s_branch .LBB11_66
.LBB11_64:                              ;   in Loop: Header=BB11_31 Depth=2
	s_mov_b32 s23, 0
.LBB11_65:                              ;   in Loop: Header=BB11_31 Depth=2
	global_load_dwordx2 v[28:29], v1, s[16:17]
	s_add_i32 s23, s24, -8
.LBB11_66:                              ;   in Loop: Header=BB11_31 Depth=2
	s_add_u32 s16, s0, 8
	s_addc_u32 s17, s1, 0
	s_cmp_gt_u32 s23, 7
	s_cbranch_scc1 .LBB11_71
; %bb.67:                               ;   in Loop: Header=BB11_31 Depth=2
	v_mov_b32_e32 v30, 0
	v_mov_b32_e32 v31, 0
	s_cmp_eq_u32 s23, 0
	s_cbranch_scc1 .LBB11_70
; %bb.68:                               ;   in Loop: Header=BB11_31 Depth=2
	s_mov_b64 s[16:17], 0
	s_mov_b64 s[18:19], 0
.LBB11_69:                              ;   Parent Loop BB11_2 Depth=1
                                        ;     Parent Loop BB11_31 Depth=2
                                        ; =>    This Inner Loop Header: Depth=3
	s_add_u32 s24, s0, s18
	s_addc_u32 s25, s1, s19
	s_add_u32 s18, s18, 1
	global_load_ubyte v0, v1, s[24:25]
	s_addc_u32 s19, s19, 0
	s_waitcnt vmcnt(0)
	v_and_b32_e32 v0, 0xffff, v0
	v_lshlrev_b64 v[32:33], s16, v[0:1]
	s_add_u32 s16, s16, 8
	s_addc_u32 s17, s17, 0
	s_cmp_lg_u32 s23, s18
	v_or_b32_e32 v30, v32, v30
	v_or_b32_e32 v31, v33, v31
	s_cbranch_scc1 .LBB11_69
.LBB11_70:                              ;   in Loop: Header=BB11_31 Depth=2
	s_mov_b64 s[16:17], s[0:1]
	s_mov_b32 s24, 0
	s_cbranch_execz .LBB11_72
	s_branch .LBB11_73
.LBB11_71:                              ;   in Loop: Header=BB11_31 Depth=2
                                        ; implicit-def: $vgpr30_vgpr31
	s_mov_b32 s24, 0
.LBB11_72:                              ;   in Loop: Header=BB11_31 Depth=2
	global_load_dwordx2 v[30:31], v1, s[0:1]
	s_add_i32 s24, s23, -8
.LBB11_73:                              ;   in Loop: Header=BB11_31 Depth=2
	s_cmp_gt_u32 s24, 7
	s_cbranch_scc1 .LBB11_78
; %bb.74:                               ;   in Loop: Header=BB11_31 Depth=2
	v_mov_b32_e32 v32, 0
	v_mov_b32_e32 v33, 0
	s_cmp_eq_u32 s24, 0
	s_cbranch_scc1 .LBB11_77
; %bb.75:                               ;   in Loop: Header=BB11_31 Depth=2
	s_mov_b64 s[0:1], 0
	s_mov_b64 s[18:19], s[16:17]
.LBB11_76:                              ;   Parent Loop BB11_2 Depth=1
                                        ;     Parent Loop BB11_31 Depth=2
                                        ; =>    This Inner Loop Header: Depth=3
	global_load_ubyte v0, v1, s[18:19]
	s_add_i32 s24, s24, -1
	s_waitcnt vmcnt(0)
	v_and_b32_e32 v0, 0xffff, v0
	v_lshlrev_b64 v[34:35], s0, v[0:1]
	s_add_u32 s0, s0, 8
	s_addc_u32 s1, s1, 0
	s_add_u32 s18, s18, 1
	s_addc_u32 s19, s19, 0
	s_cmp_lg_u32 s24, 0
	v_or_b32_e32 v32, v34, v32
	v_or_b32_e32 v33, v35, v33
	s_cbranch_scc1 .LBB11_76
.LBB11_77:                              ;   in Loop: Header=BB11_31 Depth=2
	s_cbranch_execz .LBB11_79
	s_branch .LBB11_80
.LBB11_78:                              ;   in Loop: Header=BB11_31 Depth=2
.LBB11_79:                              ;   in Loop: Header=BB11_31 Depth=2
	global_load_dwordx2 v[32:33], v1, s[16:17]
.LBB11_80:                              ;   in Loop: Header=BB11_31 Depth=2
	v_readfirstlane_b32 s0, v40
	v_mov_b32_e32 v38, 0
	v_mov_b32_e32 v39, 0
	v_cmp_eq_u32_e64 s0, s0, v40
	s_and_saveexec_b32 s1, s0
	s_cbranch_execz .LBB11_86
; %bb.81:                               ;   in Loop: Header=BB11_31 Depth=2
	global_load_dwordx2 v[36:37], v1, s[4:5] offset:24 glc dlc
	s_waitcnt vmcnt(0)
	buffer_gl1_inv
	buffer_gl0_inv
	s_clause 0x1
	global_load_dwordx2 v[34:35], v1, s[4:5] offset:40
	global_load_dwordx2 v[38:39], v1, s[4:5]
	s_mov_b32 s16, exec_lo
	s_waitcnt vmcnt(1)
	v_and_b32_e32 v0, v35, v37
	v_and_b32_e32 v34, v34, v36
	v_mul_lo_u32 v0, v0, 24
	v_mul_hi_u32 v35, v34, 24
	v_mul_lo_u32 v34, v34, 24
	v_add_nc_u32_e32 v0, v35, v0
	s_waitcnt vmcnt(0)
	v_add_co_u32 v34, vcc_lo, v38, v34
	v_add_co_ci_u32_e64 v35, null, v39, v0, vcc_lo
	global_load_dwordx2 v[34:35], v[34:35], off glc dlc
	s_waitcnt vmcnt(0)
	global_atomic_cmpswap_x2 v[38:39], v1, v[34:37], s[4:5] offset:24 glc
	s_waitcnt vmcnt(0)
	buffer_gl1_inv
	buffer_gl0_inv
	v_cmpx_ne_u64_e64 v[38:39], v[36:37]
	s_cbranch_execz .LBB11_85
; %bb.82:                               ;   in Loop: Header=BB11_31 Depth=2
	s_mov_b32 s17, 0
	.p2align	6
.LBB11_83:                              ;   Parent Loop BB11_2 Depth=1
                                        ;     Parent Loop BB11_31 Depth=2
                                        ; =>    This Inner Loop Header: Depth=3
	s_sleep 1
	s_clause 0x1
	global_load_dwordx2 v[34:35], v1, s[4:5] offset:40
	global_load_dwordx2 v[45:46], v1, s[4:5]
	v_mov_b32_e32 v36, v38
	v_mov_b32_e32 v37, v39
	s_waitcnt vmcnt(1)
	v_and_b32_e32 v0, v34, v36
	v_and_b32_e32 v34, v35, v37
	s_waitcnt vmcnt(0)
	v_mad_u64_u32 v[38:39], null, v0, 24, v[45:46]
	v_mov_b32_e32 v0, v39
	v_mad_u64_u32 v[34:35], null, v34, 24, v[0:1]
	v_mov_b32_e32 v39, v34
	global_load_dwordx2 v[34:35], v[38:39], off glc dlc
	s_waitcnt vmcnt(0)
	global_atomic_cmpswap_x2 v[38:39], v1, v[34:37], s[4:5] offset:24 glc
	s_waitcnt vmcnt(0)
	buffer_gl1_inv
	buffer_gl0_inv
	v_cmp_eq_u64_e32 vcc_lo, v[38:39], v[36:37]
	s_or_b32 s17, vcc_lo, s17
	s_andn2_b32 exec_lo, exec_lo, s17
	s_cbranch_execnz .LBB11_83
; %bb.84:                               ;   in Loop: Header=BB11_31 Depth=2
	s_or_b32 exec_lo, exec_lo, s17
.LBB11_85:                              ;   in Loop: Header=BB11_31 Depth=2
	s_or_b32 exec_lo, exec_lo, s16
.LBB11_86:                              ;   in Loop: Header=BB11_31 Depth=2
	s_or_b32 exec_lo, exec_lo, s1
	s_clause 0x1
	global_load_dwordx2 v[45:46], v1, s[4:5] offset:40
	global_load_dwordx4 v[34:37], v1, s[4:5]
	v_readfirstlane_b32 s17, v39
	v_readfirstlane_b32 s16, v38
	s_mov_b32 s1, exec_lo
	s_waitcnt vmcnt(1)
	v_readfirstlane_b32 s18, v45
	v_readfirstlane_b32 s19, v46
	s_and_b64 s[18:19], s[18:19], s[16:17]
	s_mul_i32 s23, s19, 24
	s_mul_hi_u32 s24, s18, 24
	s_mul_i32 s25, s18, 24
	s_add_i32 s24, s24, s23
	s_waitcnt vmcnt(0)
	v_add_co_u32 v38, vcc_lo, v34, s25
	v_add_co_ci_u32_e64 v39, null, s24, v35, vcc_lo
	s_and_saveexec_b32 s23, s0
	s_cbranch_execz .LBB11_88
; %bb.87:                               ;   in Loop: Header=BB11_31 Depth=2
	v_mov_b32_e32 v0, s1
	global_store_dwordx4 v[38:39], v[0:3], off offset:8
.LBB11_88:                              ;   in Loop: Header=BB11_31 Depth=2
	s_or_b32 exec_lo, exec_lo, s23
	v_cmp_lt_u64_e64 vcc_lo, s[6:7], 57
	s_lshl_b64 s[18:19], s[18:19], 12
	v_and_b32_e32 v18, 0xffffff1f, v18
	s_lshl_b32 s1, s14, 2
	s_add_i32 s1, s1, 28
	v_cndmask_b32_e32 v0, 0, v44, vcc_lo
	v_add_co_u32 v36, vcc_lo, v36, s18
	v_add_co_ci_u32_e64 v37, null, s19, v37, vcc_lo
	v_or_b32_e32 v0, v18, v0
	v_readfirstlane_b32 s18, v36
	v_readfirstlane_b32 s19, v37
	v_and_or_b32 v18, 0x1e0, s1, v0
	global_store_dwordx4 v41, v[22:25], s[18:19] offset:16
	global_store_dwordx4 v41, v[18:21], s[18:19]
	global_store_dwordx4 v41, v[26:29], s[18:19] offset:32
	global_store_dwordx4 v41, v[30:33], s[18:19] offset:48
	s_and_saveexec_b32 s1, s0
	s_cbranch_execz .LBB11_96
; %bb.89:                               ;   in Loop: Header=BB11_31 Depth=2
	s_clause 0x1
	global_load_dwordx2 v[26:27], v1, s[4:5] offset:32 glc dlc
	global_load_dwordx2 v[18:19], v1, s[4:5] offset:40
	v_mov_b32_e32 v24, s16
	v_mov_b32_e32 v25, s17
	s_waitcnt vmcnt(0)
	v_readfirstlane_b32 s18, v18
	v_readfirstlane_b32 s19, v19
	s_and_b64 s[18:19], s[18:19], s[16:17]
	s_mul_i32 s19, s19, 24
	s_mul_hi_u32 s23, s18, 24
	s_mul_i32 s18, s18, 24
	s_add_i32 s23, s23, s19
	v_add_co_u32 v22, vcc_lo, v34, s18
	v_add_co_ci_u32_e64 v23, null, s23, v35, vcc_lo
	s_mov_b32 s18, exec_lo
	global_store_dwordx2 v[22:23], v[26:27], off
	s_waitcnt_vscnt null, 0x0
	global_atomic_cmpswap_x2 v[20:21], v1, v[24:27], s[4:5] offset:32 glc
	s_waitcnt vmcnt(0)
	v_cmpx_ne_u64_e64 v[20:21], v[26:27]
	s_cbranch_execz .LBB11_92
; %bb.90:                               ;   in Loop: Header=BB11_31 Depth=2
	s_mov_b32 s19, 0
.LBB11_91:                              ;   Parent Loop BB11_2 Depth=1
                                        ;     Parent Loop BB11_31 Depth=2
                                        ; =>    This Inner Loop Header: Depth=3
	v_mov_b32_e32 v18, s16
	v_mov_b32_e32 v19, s17
	s_sleep 1
	global_store_dwordx2 v[22:23], v[20:21], off
	s_waitcnt_vscnt null, 0x0
	global_atomic_cmpswap_x2 v[18:19], v1, v[18:21], s[4:5] offset:32 glc
	s_waitcnt vmcnt(0)
	v_cmp_eq_u64_e32 vcc_lo, v[18:19], v[20:21]
	v_mov_b32_e32 v21, v19
	v_mov_b32_e32 v20, v18
	s_or_b32 s19, vcc_lo, s19
	s_andn2_b32 exec_lo, exec_lo, s19
	s_cbranch_execnz .LBB11_91
.LBB11_92:                              ;   in Loop: Header=BB11_31 Depth=2
	s_or_b32 exec_lo, exec_lo, s18
	global_load_dwordx2 v[18:19], v1, s[4:5] offset:16
	s_mov_b32 s19, exec_lo
	s_mov_b32 s18, exec_lo
	v_mbcnt_lo_u32_b32 v0, s19, 0
	v_cmpx_eq_u32_e32 0, v0
	s_cbranch_execz .LBB11_94
; %bb.93:                               ;   in Loop: Header=BB11_31 Depth=2
	s_bcnt1_i32_b32 s19, s19
	v_mov_b32_e32 v0, s19
	s_waitcnt vmcnt(0)
	global_atomic_add_x2 v[18:19], v[0:1], off offset:8
.LBB11_94:                              ;   in Loop: Header=BB11_31 Depth=2
	s_or_b32 exec_lo, exec_lo, s18
	s_waitcnt vmcnt(0)
	global_load_dwordx2 v[20:21], v[18:19], off offset:16
	s_waitcnt vmcnt(0)
	v_cmp_eq_u64_e32 vcc_lo, 0, v[20:21]
	s_cbranch_vccnz .LBB11_96
; %bb.95:                               ;   in Loop: Header=BB11_31 Depth=2
	global_load_dword v0, v[18:19], off offset:24
	s_waitcnt vmcnt(0)
	v_readfirstlane_b32 s18, v0
	s_waitcnt_vscnt null, 0x0
	global_store_dwordx2 v[20:21], v[0:1], off
	s_and_b32 m0, s18, 0x7fffff
	s_sendmsg sendmsg(MSG_INTERRUPT)
.LBB11_96:                              ;   in Loop: Header=BB11_31 Depth=2
	s_or_b32 exec_lo, exec_lo, s1
	v_add_co_u32 v18, vcc_lo, v36, v41
	v_add_co_ci_u32_e64 v19, null, 0, v37, vcc_lo
	s_branch .LBB11_100
	.p2align	6
.LBB11_97:                              ;   in Loop: Header=BB11_100 Depth=3
	s_or_b32 exec_lo, exec_lo, s1
	v_readfirstlane_b32 s1, v0
	s_cmp_eq_u32 s1, 0
	s_cbranch_scc1 .LBB11_99
; %bb.98:                               ;   in Loop: Header=BB11_100 Depth=3
	s_sleep 1
	s_cbranch_execnz .LBB11_100
	s_branch .LBB11_102
	.p2align	6
.LBB11_99:                              ;   in Loop: Header=BB11_31 Depth=2
	s_branch .LBB11_102
.LBB11_100:                             ;   Parent Loop BB11_2 Depth=1
                                        ;     Parent Loop BB11_31 Depth=2
                                        ; =>    This Inner Loop Header: Depth=3
	v_mov_b32_e32 v0, 1
	s_and_saveexec_b32 s1, s0
	s_cbranch_execz .LBB11_97
; %bb.101:                              ;   in Loop: Header=BB11_100 Depth=3
	global_load_dword v0, v[38:39], off offset:20 glc dlc
	s_waitcnt vmcnt(0)
	buffer_gl1_inv
	buffer_gl0_inv
	v_and_b32_e32 v0, 1, v0
	s_branch .LBB11_97
.LBB11_102:                             ;   in Loop: Header=BB11_31 Depth=2
	global_load_dwordx2 v[18:19], v[18:19], off
	s_and_saveexec_b32 s18, s0
	s_cbranch_execz .LBB11_30
; %bb.103:                              ;   in Loop: Header=BB11_31 Depth=2
	s_clause 0x2
	global_load_dwordx2 v[20:21], v1, s[4:5] offset:40
	global_load_dwordx2 v[28:29], v1, s[4:5] offset:24 glc dlc
	global_load_dwordx2 v[22:23], v1, s[4:5]
	s_waitcnt vmcnt(2)
	v_readfirstlane_b32 s24, v20
	v_readfirstlane_b32 s25, v21
	s_add_u32 s19, s24, 1
	s_addc_u32 s23, s25, 0
	s_add_u32 s0, s19, s16
	s_addc_u32 s1, s23, s17
	s_cmp_eq_u64 s[0:1], 0
	s_cselect_b32 s1, s23, s1
	s_cselect_b32 s0, s19, s0
	v_mov_b32_e32 v27, s1
	s_and_b64 s[16:17], s[0:1], s[24:25]
	v_mov_b32_e32 v26, s0
	s_mul_i32 s17, s17, 24
	s_mul_hi_u32 s19, s16, 24
	s_mul_i32 s16, s16, 24
	s_add_i32 s19, s19, s17
	s_waitcnt vmcnt(0)
	v_add_co_u32 v24, vcc_lo, v22, s16
	v_add_co_ci_u32_e64 v25, null, s19, v23, vcc_lo
	global_store_dwordx2 v[24:25], v[28:29], off
	s_waitcnt_vscnt null, 0x0
	global_atomic_cmpswap_x2 v[22:23], v1, v[26:29], s[4:5] offset:24 glc
	s_waitcnt vmcnt(0)
	v_cmp_ne_u64_e32 vcc_lo, v[22:23], v[28:29]
	s_and_b32 exec_lo, exec_lo, vcc_lo
	s_cbranch_execz .LBB11_30
; %bb.104:                              ;   in Loop: Header=BB11_31 Depth=2
	s_mov_b32 s16, 0
.LBB11_105:                             ;   Parent Loop BB11_2 Depth=1
                                        ;     Parent Loop BB11_31 Depth=2
                                        ; =>    This Inner Loop Header: Depth=3
	v_mov_b32_e32 v20, s0
	v_mov_b32_e32 v21, s1
	s_sleep 1
	global_store_dwordx2 v[24:25], v[22:23], off
	s_waitcnt_vscnt null, 0x0
	global_atomic_cmpswap_x2 v[20:21], v1, v[20:23], s[4:5] offset:24 glc
	s_waitcnt vmcnt(0)
	v_cmp_eq_u64_e32 vcc_lo, v[20:21], v[22:23]
	v_mov_b32_e32 v23, v21
	v_mov_b32_e32 v22, v20
	s_or_b32 s16, vcc_lo, s16
	s_andn2_b32 exec_lo, exec_lo, s16
	s_cbranch_execnz .LBB11_105
	s_branch .LBB11_30
.LBB11_106:                             ;   in Loop: Header=BB11_2 Depth=1
	s_branch .LBB11_135
.LBB11_107:                             ;   in Loop: Header=BB11_2 Depth=1
                                        ; implicit-def: $vgpr18_vgpr19
	s_cbranch_execz .LBB11_135
; %bb.108:                              ;   in Loop: Header=BB11_2 Depth=1
	v_readfirstlane_b32 s0, v40
	s_waitcnt vmcnt(0)
	v_mov_b32_e32 v18, 0
	v_mov_b32_e32 v19, 0
	v_cmp_eq_u32_e64 s0, s0, v40
	s_and_saveexec_b32 s1, s0
	s_cbranch_execz .LBB11_114
; %bb.109:                              ;   in Loop: Header=BB11_2 Depth=1
	global_load_dwordx2 v[20:21], v1, s[4:5] offset:24 glc dlc
	s_waitcnt vmcnt(0)
	buffer_gl1_inv
	buffer_gl0_inv
	s_clause 0x1
	global_load_dwordx2 v[18:19], v1, s[4:5] offset:40
	global_load_dwordx2 v[22:23], v1, s[4:5]
	s_mov_b32 s6, exec_lo
	s_waitcnt vmcnt(1)
	v_and_b32_e32 v0, v19, v21
	v_and_b32_e32 v18, v18, v20
	v_mul_lo_u32 v0, v0, 24
	v_mul_hi_u32 v19, v18, 24
	v_mul_lo_u32 v18, v18, 24
	v_add_nc_u32_e32 v0, v19, v0
	s_waitcnt vmcnt(0)
	v_add_co_u32 v18, vcc_lo, v22, v18
	v_add_co_ci_u32_e64 v19, null, v23, v0, vcc_lo
	global_load_dwordx2 v[18:19], v[18:19], off glc dlc
	s_waitcnt vmcnt(0)
	global_atomic_cmpswap_x2 v[18:19], v1, v[18:21], s[4:5] offset:24 glc
	s_waitcnt vmcnt(0)
	buffer_gl1_inv
	buffer_gl0_inv
	v_cmpx_ne_u64_e64 v[18:19], v[20:21]
	s_cbranch_execz .LBB11_113
; %bb.110:                              ;   in Loop: Header=BB11_2 Depth=1
	s_mov_b32 s7, 0
	.p2align	6
.LBB11_111:                             ;   Parent Loop BB11_2 Depth=1
                                        ; =>  This Inner Loop Header: Depth=2
	s_sleep 1
	s_clause 0x1
	global_load_dwordx2 v[22:23], v1, s[4:5] offset:40
	global_load_dwordx2 v[24:25], v1, s[4:5]
	v_mov_b32_e32 v21, v19
	v_mov_b32_e32 v20, v18
	s_waitcnt vmcnt(1)
	v_and_b32_e32 v0, v22, v20
	v_and_b32_e32 v22, v23, v21
	s_waitcnt vmcnt(0)
	v_mad_u64_u32 v[18:19], null, v0, 24, v[24:25]
	v_mov_b32_e32 v0, v19
	v_mad_u64_u32 v[22:23], null, v22, 24, v[0:1]
	v_mov_b32_e32 v19, v22
	global_load_dwordx2 v[18:19], v[18:19], off glc dlc
	s_waitcnt vmcnt(0)
	global_atomic_cmpswap_x2 v[18:19], v1, v[18:21], s[4:5] offset:24 glc
	s_waitcnt vmcnt(0)
	buffer_gl1_inv
	buffer_gl0_inv
	v_cmp_eq_u64_e32 vcc_lo, v[18:19], v[20:21]
	s_or_b32 s7, vcc_lo, s7
	s_andn2_b32 exec_lo, exec_lo, s7
	s_cbranch_execnz .LBB11_111
; %bb.112:                              ;   in Loop: Header=BB11_2 Depth=1
	s_or_b32 exec_lo, exec_lo, s7
.LBB11_113:                             ;   in Loop: Header=BB11_2 Depth=1
	s_or_b32 exec_lo, exec_lo, s6
.LBB11_114:                             ;   in Loop: Header=BB11_2 Depth=1
	s_or_b32 exec_lo, exec_lo, s1
	s_clause 0x1
	global_load_dwordx2 v[24:25], v1, s[4:5] offset:40
	global_load_dwordx4 v[20:23], v1, s[4:5]
	v_readfirstlane_b32 s7, v19
	v_readfirstlane_b32 s6, v18
	s_mov_b32 s1, exec_lo
	s_waitcnt vmcnt(1)
	v_readfirstlane_b32 s12, v24
	v_readfirstlane_b32 s13, v25
	s_and_b64 s[12:13], s[12:13], s[6:7]
	s_mul_i32 s14, s13, 24
	s_mul_hi_u32 s15, s12, 24
	s_mul_i32 s16, s12, 24
	s_add_i32 s15, s15, s14
	s_waitcnt vmcnt(0)
	v_add_co_u32 v24, vcc_lo, v20, s16
	v_add_co_ci_u32_e64 v25, null, s15, v21, vcc_lo
	s_and_saveexec_b32 s14, s0
	s_cbranch_execz .LBB11_116
; %bb.115:                              ;   in Loop: Header=BB11_2 Depth=1
	v_mov_b32_e32 v0, s1
	global_store_dwordx4 v[24:25], v[0:3], off offset:8
.LBB11_116:                             ;   in Loop: Header=BB11_2 Depth=1
	s_or_b32 exec_lo, exec_lo, s14
	s_lshl_b64 s[12:13], s[12:13], 12
	v_and_or_b32 v16, 0xffffff1f, v16, 32
	v_add_co_u32 v22, vcc_lo, v22, s12
	v_add_co_ci_u32_e64 v23, null, s13, v23, vcc_lo
	v_mov_b32_e32 v18, v1
	v_mov_b32_e32 v19, v1
	v_readfirstlane_b32 s12, v22
	v_readfirstlane_b32 s13, v23
	v_mov_b32_e32 v29, s11
	v_mov_b32_e32 v28, s10
	v_mov_b32_e32 v27, s9
	v_mov_b32_e32 v26, s8
	global_store_dwordx4 v41, v[16:19], s[12:13]
	global_store_dwordx4 v41, v[26:29], s[12:13] offset:16
	global_store_dwordx4 v41, v[26:29], s[12:13] offset:32
	;; [unrolled: 1-line block ×3, first 2 shown]
	s_and_saveexec_b32 s1, s0
	s_cbranch_execz .LBB11_124
; %bb.117:                              ;   in Loop: Header=BB11_2 Depth=1
	s_clause 0x1
	global_load_dwordx2 v[28:29], v1, s[4:5] offset:32 glc dlc
	global_load_dwordx2 v[16:17], v1, s[4:5] offset:40
	v_mov_b32_e32 v26, s6
	v_mov_b32_e32 v27, s7
	s_waitcnt vmcnt(0)
	v_readfirstlane_b32 s12, v16
	v_readfirstlane_b32 s13, v17
	s_and_b64 s[12:13], s[12:13], s[6:7]
	s_mul_i32 s13, s13, 24
	s_mul_hi_u32 s14, s12, 24
	s_mul_i32 s12, s12, 24
	s_add_i32 s14, s14, s13
	v_add_co_u32 v20, vcc_lo, v20, s12
	v_add_co_ci_u32_e64 v21, null, s14, v21, vcc_lo
	s_mov_b32 s12, exec_lo
	global_store_dwordx2 v[20:21], v[28:29], off
	s_waitcnt_vscnt null, 0x0
	global_atomic_cmpswap_x2 v[18:19], v1, v[26:29], s[4:5] offset:32 glc
	s_waitcnt vmcnt(0)
	v_cmpx_ne_u64_e64 v[18:19], v[28:29]
	s_cbranch_execz .LBB11_120
; %bb.118:                              ;   in Loop: Header=BB11_2 Depth=1
	s_mov_b32 s13, 0
.LBB11_119:                             ;   Parent Loop BB11_2 Depth=1
                                        ; =>  This Inner Loop Header: Depth=2
	v_mov_b32_e32 v16, s6
	v_mov_b32_e32 v17, s7
	s_sleep 1
	global_store_dwordx2 v[20:21], v[18:19], off
	s_waitcnt_vscnt null, 0x0
	global_atomic_cmpswap_x2 v[16:17], v1, v[16:19], s[4:5] offset:32 glc
	s_waitcnt vmcnt(0)
	v_cmp_eq_u64_e32 vcc_lo, v[16:17], v[18:19]
	v_mov_b32_e32 v19, v17
	v_mov_b32_e32 v18, v16
	s_or_b32 s13, vcc_lo, s13
	s_andn2_b32 exec_lo, exec_lo, s13
	s_cbranch_execnz .LBB11_119
.LBB11_120:                             ;   in Loop: Header=BB11_2 Depth=1
	s_or_b32 exec_lo, exec_lo, s12
	global_load_dwordx2 v[16:17], v1, s[4:5] offset:16
	s_mov_b32 s13, exec_lo
	s_mov_b32 s12, exec_lo
	v_mbcnt_lo_u32_b32 v0, s13, 0
	v_cmpx_eq_u32_e32 0, v0
	s_cbranch_execz .LBB11_122
; %bb.121:                              ;   in Loop: Header=BB11_2 Depth=1
	s_bcnt1_i32_b32 s13, s13
	v_mov_b32_e32 v0, s13
	s_waitcnt vmcnt(0)
	global_atomic_add_x2 v[16:17], v[0:1], off offset:8
.LBB11_122:                             ;   in Loop: Header=BB11_2 Depth=1
	s_or_b32 exec_lo, exec_lo, s12
	s_waitcnt vmcnt(0)
	global_load_dwordx2 v[18:19], v[16:17], off offset:16
	s_waitcnt vmcnt(0)
	v_cmp_eq_u64_e32 vcc_lo, 0, v[18:19]
	s_cbranch_vccnz .LBB11_124
; %bb.123:                              ;   in Loop: Header=BB11_2 Depth=1
	global_load_dword v0, v[16:17], off offset:24
	s_waitcnt vmcnt(0)
	v_readfirstlane_b32 s12, v0
	s_waitcnt_vscnt null, 0x0
	global_store_dwordx2 v[18:19], v[0:1], off
	s_and_b32 m0, s12, 0x7fffff
	s_sendmsg sendmsg(MSG_INTERRUPT)
.LBB11_124:                             ;   in Loop: Header=BB11_2 Depth=1
	s_or_b32 exec_lo, exec_lo, s1
	v_add_co_u32 v16, vcc_lo, v22, v41
	v_add_co_ci_u32_e64 v17, null, 0, v23, vcc_lo
	s_branch .LBB11_128
	.p2align	6
.LBB11_125:                             ;   in Loop: Header=BB11_128 Depth=2
	s_or_b32 exec_lo, exec_lo, s1
	v_readfirstlane_b32 s1, v0
	s_cmp_eq_u32 s1, 0
	s_cbranch_scc1 .LBB11_127
; %bb.126:                              ;   in Loop: Header=BB11_128 Depth=2
	s_sleep 1
	s_cbranch_execnz .LBB11_128
	s_branch .LBB11_130
	.p2align	6
.LBB11_127:                             ;   in Loop: Header=BB11_2 Depth=1
	s_branch .LBB11_130
.LBB11_128:                             ;   Parent Loop BB11_2 Depth=1
                                        ; =>  This Inner Loop Header: Depth=2
	v_mov_b32_e32 v0, 1
	s_and_saveexec_b32 s1, s0
	s_cbranch_execz .LBB11_125
; %bb.129:                              ;   in Loop: Header=BB11_128 Depth=2
	global_load_dword v0, v[24:25], off offset:20 glc dlc
	s_waitcnt vmcnt(0)
	buffer_gl1_inv
	buffer_gl0_inv
	v_and_b32_e32 v0, 1, v0
	s_branch .LBB11_125
.LBB11_130:                             ;   in Loop: Header=BB11_2 Depth=1
	global_load_dwordx2 v[18:19], v[16:17], off
	s_and_saveexec_b32 s12, s0
	s_cbranch_execz .LBB11_134
; %bb.131:                              ;   in Loop: Header=BB11_2 Depth=1
	s_clause 0x2
	global_load_dwordx2 v[16:17], v1, s[4:5] offset:40
	global_load_dwordx2 v[24:25], v1, s[4:5] offset:24 glc dlc
	global_load_dwordx2 v[20:21], v1, s[4:5]
	s_waitcnt vmcnt(2)
	v_readfirstlane_b32 s14, v16
	v_readfirstlane_b32 s15, v17
	s_add_u32 s13, s14, 1
	s_addc_u32 s16, s15, 0
	s_add_u32 s0, s13, s6
	s_addc_u32 s1, s16, s7
	s_cmp_eq_u64 s[0:1], 0
	s_cselect_b32 s1, s16, s1
	s_cselect_b32 s0, s13, s0
	v_mov_b32_e32 v23, s1
	s_and_b64 s[6:7], s[0:1], s[14:15]
	v_mov_b32_e32 v22, s0
	s_mul_i32 s7, s7, 24
	s_mul_hi_u32 s13, s6, 24
	s_mul_i32 s6, s6, 24
	s_add_i32 s13, s13, s7
	s_waitcnt vmcnt(0)
	v_add_co_u32 v16, vcc_lo, v20, s6
	v_add_co_ci_u32_e64 v17, null, s13, v21, vcc_lo
	global_store_dwordx2 v[16:17], v[24:25], off
	s_waitcnt_vscnt null, 0x0
	global_atomic_cmpswap_x2 v[22:23], v1, v[22:25], s[4:5] offset:24 glc
	s_waitcnt vmcnt(0)
	v_cmp_ne_u64_e32 vcc_lo, v[22:23], v[24:25]
	s_and_b32 exec_lo, exec_lo, vcc_lo
	s_cbranch_execz .LBB11_134
; %bb.132:                              ;   in Loop: Header=BB11_2 Depth=1
	s_mov_b32 s6, 0
.LBB11_133:                             ;   Parent Loop BB11_2 Depth=1
                                        ; =>  This Inner Loop Header: Depth=2
	v_mov_b32_e32 v20, s0
	v_mov_b32_e32 v21, s1
	s_sleep 1
	global_store_dwordx2 v[16:17], v[22:23], off
	s_waitcnt_vscnt null, 0x0
	global_atomic_cmpswap_x2 v[20:21], v1, v[20:23], s[4:5] offset:24 glc
	s_waitcnt vmcnt(0)
	v_cmp_eq_u64_e32 vcc_lo, v[20:21], v[22:23]
	v_mov_b32_e32 v23, v21
	v_mov_b32_e32 v22, v20
	s_or_b32 s6, vcc_lo, s6
	s_andn2_b32 exec_lo, exec_lo, s6
	s_cbranch_execnz .LBB11_133
.LBB11_134:                             ;   in Loop: Header=BB11_2 Depth=1
	s_or_b32 exec_lo, exec_lo, s12
.LBB11_135:                             ;   in Loop: Header=BB11_2 Depth=1
	v_readfirstlane_b32 s0, v40
	s_waitcnt vmcnt(0)
	v_mov_b32_e32 v16, 0
	v_mov_b32_e32 v17, 0
	v_cmp_eq_u32_e64 s0, s0, v40
	s_and_saveexec_b32 s1, s0
	s_cbranch_execz .LBB11_141
; %bb.136:                              ;   in Loop: Header=BB11_2 Depth=1
	global_load_dwordx2 v[22:23], v1, s[4:5] offset:24 glc dlc
	s_waitcnt vmcnt(0)
	buffer_gl1_inv
	buffer_gl0_inv
	s_clause 0x1
	global_load_dwordx2 v[16:17], v1, s[4:5] offset:40
	global_load_dwordx2 v[20:21], v1, s[4:5]
	s_mov_b32 s6, exec_lo
	s_waitcnt vmcnt(1)
	v_and_b32_e32 v0, v17, v23
	v_and_b32_e32 v16, v16, v22
	v_mul_lo_u32 v0, v0, 24
	v_mul_hi_u32 v17, v16, 24
	v_mul_lo_u32 v16, v16, 24
	v_add_nc_u32_e32 v0, v17, v0
	s_waitcnt vmcnt(0)
	v_add_co_u32 v16, vcc_lo, v20, v16
	v_add_co_ci_u32_e64 v17, null, v21, v0, vcc_lo
	global_load_dwordx2 v[20:21], v[16:17], off glc dlc
	s_waitcnt vmcnt(0)
	global_atomic_cmpswap_x2 v[16:17], v1, v[20:23], s[4:5] offset:24 glc
	s_waitcnt vmcnt(0)
	buffer_gl1_inv
	buffer_gl0_inv
	v_cmpx_ne_u64_e64 v[16:17], v[22:23]
	s_cbranch_execz .LBB11_140
; %bb.137:                              ;   in Loop: Header=BB11_2 Depth=1
	s_mov_b32 s7, 0
	.p2align	6
.LBB11_138:                             ;   Parent Loop BB11_2 Depth=1
                                        ; =>  This Inner Loop Header: Depth=2
	s_sleep 1
	s_clause 0x1
	global_load_dwordx2 v[20:21], v1, s[4:5] offset:40
	global_load_dwordx2 v[24:25], v1, s[4:5]
	v_mov_b32_e32 v23, v17
	v_mov_b32_e32 v22, v16
	s_waitcnt vmcnt(1)
	v_and_b32_e32 v0, v20, v22
	v_and_b32_e32 v20, v21, v23
	s_waitcnt vmcnt(0)
	v_mad_u64_u32 v[16:17], null, v0, 24, v[24:25]
	v_mov_b32_e32 v0, v17
	v_mad_u64_u32 v[20:21], null, v20, 24, v[0:1]
	v_mov_b32_e32 v17, v20
	global_load_dwordx2 v[20:21], v[16:17], off glc dlc
	s_waitcnt vmcnt(0)
	global_atomic_cmpswap_x2 v[16:17], v1, v[20:23], s[4:5] offset:24 glc
	s_waitcnt vmcnt(0)
	buffer_gl1_inv
	buffer_gl0_inv
	v_cmp_eq_u64_e32 vcc_lo, v[16:17], v[22:23]
	s_or_b32 s7, vcc_lo, s7
	s_andn2_b32 exec_lo, exec_lo, s7
	s_cbranch_execnz .LBB11_138
; %bb.139:                              ;   in Loop: Header=BB11_2 Depth=1
	s_or_b32 exec_lo, exec_lo, s7
.LBB11_140:                             ;   in Loop: Header=BB11_2 Depth=1
	s_or_b32 exec_lo, exec_lo, s6
.LBB11_141:                             ;   in Loop: Header=BB11_2 Depth=1
	s_or_b32 exec_lo, exec_lo, s1
	s_clause 0x1
	global_load_dwordx2 v[20:21], v1, s[4:5] offset:40
	global_load_dwordx4 v[22:25], v1, s[4:5]
	v_readfirstlane_b32 s7, v17
	v_readfirstlane_b32 s6, v16
	s_mov_b32 s1, exec_lo
	s_waitcnt vmcnt(1)
	v_readfirstlane_b32 s12, v20
	v_readfirstlane_b32 s13, v21
	s_and_b64 s[12:13], s[12:13], s[6:7]
	s_mul_i32 s14, s13, 24
	s_mul_hi_u32 s15, s12, 24
	s_mul_i32 s16, s12, 24
	s_add_i32 s15, s15, s14
	s_waitcnt vmcnt(0)
	v_add_co_u32 v26, vcc_lo, v22, s16
	v_add_co_ci_u32_e64 v27, null, s15, v23, vcc_lo
	s_and_saveexec_b32 s14, s0
	s_cbranch_execz .LBB11_143
; %bb.142:                              ;   in Loop: Header=BB11_2 Depth=1
	v_mov_b32_e32 v0, s1
	global_store_dwordx4 v[26:27], v[0:3], off offset:8
.LBB11_143:                             ;   in Loop: Header=BB11_2 Depth=1
	s_or_b32 exec_lo, exec_lo, s14
	s_lshl_b64 s[12:13], s[12:13], 12
	v_and_or_b32 v18, 0xffffff1f, v18, 32
	v_add_co_u32 v24, vcc_lo, v24, s12
	v_add_co_ci_u32_e64 v25, null, s13, v25, vcc_lo
	v_mov_b32_e32 v20, s22
	v_mov_b32_e32 v21, v1
	v_readfirstlane_b32 s12, v24
	v_readfirstlane_b32 s13, v25
	v_mov_b32_e32 v31, s11
	v_mov_b32_e32 v30, s10
	;; [unrolled: 1-line block ×4, first 2 shown]
	global_store_dwordx4 v41, v[18:21], s[12:13]
	global_store_dwordx4 v41, v[28:31], s[12:13] offset:16
	global_store_dwordx4 v41, v[28:31], s[12:13] offset:32
	;; [unrolled: 1-line block ×3, first 2 shown]
	s_and_saveexec_b32 s1, s0
	s_cbranch_execz .LBB11_151
; %bb.144:                              ;   in Loop: Header=BB11_2 Depth=1
	s_clause 0x1
	global_load_dwordx2 v[30:31], v1, s[4:5] offset:32 glc dlc
	global_load_dwordx2 v[16:17], v1, s[4:5] offset:40
	v_mov_b32_e32 v28, s6
	v_mov_b32_e32 v29, s7
	s_waitcnt vmcnt(0)
	v_readfirstlane_b32 s12, v16
	v_readfirstlane_b32 s13, v17
	s_and_b64 s[12:13], s[12:13], s[6:7]
	s_mul_i32 s13, s13, 24
	s_mul_hi_u32 s14, s12, 24
	s_mul_i32 s12, s12, 24
	s_add_i32 s14, s14, s13
	v_add_co_u32 v20, vcc_lo, v22, s12
	v_add_co_ci_u32_e64 v21, null, s14, v23, vcc_lo
	s_mov_b32 s12, exec_lo
	global_store_dwordx2 v[20:21], v[30:31], off
	s_waitcnt_vscnt null, 0x0
	global_atomic_cmpswap_x2 v[18:19], v1, v[28:31], s[4:5] offset:32 glc
	s_waitcnt vmcnt(0)
	v_cmpx_ne_u64_e64 v[18:19], v[30:31]
	s_cbranch_execz .LBB11_147
; %bb.145:                              ;   in Loop: Header=BB11_2 Depth=1
	s_mov_b32 s13, 0
.LBB11_146:                             ;   Parent Loop BB11_2 Depth=1
                                        ; =>  This Inner Loop Header: Depth=2
	v_mov_b32_e32 v16, s6
	v_mov_b32_e32 v17, s7
	s_sleep 1
	global_store_dwordx2 v[20:21], v[18:19], off
	s_waitcnt_vscnt null, 0x0
	global_atomic_cmpswap_x2 v[16:17], v1, v[16:19], s[4:5] offset:32 glc
	s_waitcnt vmcnt(0)
	v_cmp_eq_u64_e32 vcc_lo, v[16:17], v[18:19]
	v_mov_b32_e32 v19, v17
	v_mov_b32_e32 v18, v16
	s_or_b32 s13, vcc_lo, s13
	s_andn2_b32 exec_lo, exec_lo, s13
	s_cbranch_execnz .LBB11_146
.LBB11_147:                             ;   in Loop: Header=BB11_2 Depth=1
	s_or_b32 exec_lo, exec_lo, s12
	global_load_dwordx2 v[16:17], v1, s[4:5] offset:16
	s_mov_b32 s13, exec_lo
	s_mov_b32 s12, exec_lo
	v_mbcnt_lo_u32_b32 v0, s13, 0
	v_cmpx_eq_u32_e32 0, v0
	s_cbranch_execz .LBB11_149
; %bb.148:                              ;   in Loop: Header=BB11_2 Depth=1
	s_bcnt1_i32_b32 s13, s13
	v_mov_b32_e32 v0, s13
	s_waitcnt vmcnt(0)
	global_atomic_add_x2 v[16:17], v[0:1], off offset:8
.LBB11_149:                             ;   in Loop: Header=BB11_2 Depth=1
	s_or_b32 exec_lo, exec_lo, s12
	s_waitcnt vmcnt(0)
	global_load_dwordx2 v[18:19], v[16:17], off offset:16
	s_waitcnt vmcnt(0)
	v_cmp_eq_u64_e32 vcc_lo, 0, v[18:19]
	s_cbranch_vccnz .LBB11_151
; %bb.150:                              ;   in Loop: Header=BB11_2 Depth=1
	global_load_dword v0, v[16:17], off offset:24
	s_waitcnt vmcnt(0)
	v_readfirstlane_b32 s12, v0
	s_waitcnt_vscnt null, 0x0
	global_store_dwordx2 v[18:19], v[0:1], off
	s_and_b32 m0, s12, 0x7fffff
	s_sendmsg sendmsg(MSG_INTERRUPT)
.LBB11_151:                             ;   in Loop: Header=BB11_2 Depth=1
	s_or_b32 exec_lo, exec_lo, s1
	v_add_co_u32 v16, vcc_lo, v24, v41
	v_add_co_ci_u32_e64 v17, null, 0, v25, vcc_lo
	s_branch .LBB11_155
	.p2align	6
.LBB11_152:                             ;   in Loop: Header=BB11_155 Depth=2
	s_or_b32 exec_lo, exec_lo, s1
	v_readfirstlane_b32 s1, v0
	s_cmp_eq_u32 s1, 0
	s_cbranch_scc1 .LBB11_154
; %bb.153:                              ;   in Loop: Header=BB11_155 Depth=2
	s_sleep 1
	s_cbranch_execnz .LBB11_155
	s_branch .LBB11_157
	.p2align	6
.LBB11_154:                             ;   in Loop: Header=BB11_2 Depth=1
	s_branch .LBB11_157
.LBB11_155:                             ;   Parent Loop BB11_2 Depth=1
                                        ; =>  This Inner Loop Header: Depth=2
	v_mov_b32_e32 v0, 1
	s_and_saveexec_b32 s1, s0
	s_cbranch_execz .LBB11_152
; %bb.156:                              ;   in Loop: Header=BB11_155 Depth=2
	global_load_dword v0, v[26:27], off offset:20 glc dlc
	s_waitcnt vmcnt(0)
	buffer_gl1_inv
	buffer_gl0_inv
	v_and_b32_e32 v0, 1, v0
	s_branch .LBB11_152
.LBB11_157:                             ;   in Loop: Header=BB11_2 Depth=1
	global_load_dwordx2 v[16:17], v[16:17], off
	s_and_saveexec_b32 s12, s0
	s_cbranch_execz .LBB11_161
; %bb.158:                              ;   in Loop: Header=BB11_2 Depth=1
	s_clause 0x2
	global_load_dwordx2 v[18:19], v1, s[4:5] offset:40
	global_load_dwordx2 v[26:27], v1, s[4:5] offset:24 glc dlc
	global_load_dwordx2 v[20:21], v1, s[4:5]
	s_waitcnt vmcnt(2)
	v_readfirstlane_b32 s14, v18
	v_readfirstlane_b32 s15, v19
	s_add_u32 s13, s14, 1
	s_addc_u32 s16, s15, 0
	s_add_u32 s0, s13, s6
	s_addc_u32 s1, s16, s7
	s_cmp_eq_u64 s[0:1], 0
	s_cselect_b32 s1, s16, s1
	s_cselect_b32 s0, s13, s0
	v_mov_b32_e32 v25, s1
	s_and_b64 s[6:7], s[0:1], s[14:15]
	v_mov_b32_e32 v24, s0
	s_mul_i32 s7, s7, 24
	s_mul_hi_u32 s13, s6, 24
	s_mul_i32 s6, s6, 24
	s_add_i32 s13, s13, s7
	s_waitcnt vmcnt(0)
	v_add_co_u32 v22, vcc_lo, v20, s6
	v_add_co_ci_u32_e64 v23, null, s13, v21, vcc_lo
	global_store_dwordx2 v[22:23], v[26:27], off
	s_waitcnt_vscnt null, 0x0
	global_atomic_cmpswap_x2 v[20:21], v1, v[24:27], s[4:5] offset:24 glc
	s_waitcnt vmcnt(0)
	v_cmp_ne_u64_e32 vcc_lo, v[20:21], v[26:27]
	s_and_b32 exec_lo, exec_lo, vcc_lo
	s_cbranch_execz .LBB11_161
; %bb.159:                              ;   in Loop: Header=BB11_2 Depth=1
	s_mov_b32 s6, 0
.LBB11_160:                             ;   Parent Loop BB11_2 Depth=1
                                        ; =>  This Inner Loop Header: Depth=2
	v_mov_b32_e32 v18, s0
	v_mov_b32_e32 v19, s1
	s_sleep 1
	global_store_dwordx2 v[22:23], v[20:21], off
	s_waitcnt_vscnt null, 0x0
	global_atomic_cmpswap_x2 v[18:19], v1, v[18:21], s[4:5] offset:24 glc
	s_waitcnt vmcnt(0)
	v_cmp_eq_u64_e32 vcc_lo, v[18:19], v[20:21]
	v_mov_b32_e32 v21, v19
	v_mov_b32_e32 v20, v18
	s_or_b32 s6, vcc_lo, s6
	s_andn2_b32 exec_lo, exec_lo, s6
	s_cbranch_execnz .LBB11_160
.LBB11_161:                             ;   in Loop: Header=BB11_2 Depth=1
	s_or_b32 exec_lo, exec_lo, s12
	v_readfirstlane_b32 s0, v40
	v_mov_b32_e32 v18, 0
	v_mov_b32_e32 v19, 0
	v_cmp_eq_u32_e64 s0, s0, v40
	s_and_saveexec_b32 s1, s0
	s_cbranch_execz .LBB11_167
; %bb.162:                              ;   in Loop: Header=BB11_2 Depth=1
	global_load_dwordx2 v[20:21], v1, s[4:5] offset:24 glc dlc
	s_waitcnt vmcnt(0)
	buffer_gl1_inv
	buffer_gl0_inv
	s_clause 0x1
	global_load_dwordx2 v[18:19], v1, s[4:5] offset:40
	global_load_dwordx2 v[22:23], v1, s[4:5]
	s_mov_b32 s6, exec_lo
	s_waitcnt vmcnt(1)
	v_and_b32_e32 v0, v19, v21
	v_and_b32_e32 v18, v18, v20
	v_mul_lo_u32 v0, v0, 24
	v_mul_hi_u32 v19, v18, 24
	v_mul_lo_u32 v18, v18, 24
	v_add_nc_u32_e32 v0, v19, v0
	s_waitcnt vmcnt(0)
	v_add_co_u32 v18, vcc_lo, v22, v18
	v_add_co_ci_u32_e64 v19, null, v23, v0, vcc_lo
	global_load_dwordx2 v[18:19], v[18:19], off glc dlc
	s_waitcnt vmcnt(0)
	global_atomic_cmpswap_x2 v[18:19], v1, v[18:21], s[4:5] offset:24 glc
	s_waitcnt vmcnt(0)
	buffer_gl1_inv
	buffer_gl0_inv
	v_cmpx_ne_u64_e64 v[18:19], v[20:21]
	s_cbranch_execz .LBB11_166
; %bb.163:                              ;   in Loop: Header=BB11_2 Depth=1
	s_mov_b32 s7, 0
	.p2align	6
.LBB11_164:                             ;   Parent Loop BB11_2 Depth=1
                                        ; =>  This Inner Loop Header: Depth=2
	s_sleep 1
	s_clause 0x1
	global_load_dwordx2 v[22:23], v1, s[4:5] offset:40
	global_load_dwordx2 v[24:25], v1, s[4:5]
	v_mov_b32_e32 v21, v19
	v_mov_b32_e32 v20, v18
	s_waitcnt vmcnt(1)
	v_and_b32_e32 v0, v22, v20
	v_and_b32_e32 v22, v23, v21
	s_waitcnt vmcnt(0)
	v_mad_u64_u32 v[18:19], null, v0, 24, v[24:25]
	v_mov_b32_e32 v0, v19
	v_mad_u64_u32 v[22:23], null, v22, 24, v[0:1]
	v_mov_b32_e32 v19, v22
	global_load_dwordx2 v[18:19], v[18:19], off glc dlc
	s_waitcnt vmcnt(0)
	global_atomic_cmpswap_x2 v[18:19], v1, v[18:21], s[4:5] offset:24 glc
	s_waitcnt vmcnt(0)
	buffer_gl1_inv
	buffer_gl0_inv
	v_cmp_eq_u64_e32 vcc_lo, v[18:19], v[20:21]
	s_or_b32 s7, vcc_lo, s7
	s_andn2_b32 exec_lo, exec_lo, s7
	s_cbranch_execnz .LBB11_164
; %bb.165:                              ;   in Loop: Header=BB11_2 Depth=1
	s_or_b32 exec_lo, exec_lo, s7
.LBB11_166:                             ;   in Loop: Header=BB11_2 Depth=1
	s_or_b32 exec_lo, exec_lo, s6
.LBB11_167:                             ;   in Loop: Header=BB11_2 Depth=1
	s_or_b32 exec_lo, exec_lo, s1
	s_clause 0x1
	global_load_dwordx2 v[24:25], v1, s[4:5] offset:40
	global_load_dwordx4 v[20:23], v1, s[4:5]
	v_readfirstlane_b32 s7, v19
	v_readfirstlane_b32 s6, v18
	s_mov_b32 s1, exec_lo
	s_waitcnt vmcnt(1)
	v_readfirstlane_b32 s12, v24
	v_readfirstlane_b32 s13, v25
	s_and_b64 s[12:13], s[12:13], s[6:7]
	s_mul_i32 s14, s13, 24
	s_mul_hi_u32 s15, s12, 24
	s_mul_i32 s16, s12, 24
	s_add_i32 s15, s15, s14
	s_waitcnt vmcnt(0)
	v_add_co_u32 v24, vcc_lo, v20, s16
	v_add_co_ci_u32_e64 v25, null, s15, v21, vcc_lo
	s_and_saveexec_b32 s14, s0
	s_cbranch_execz .LBB11_169
; %bb.168:                              ;   in Loop: Header=BB11_2 Depth=1
	v_mov_b32_e32 v0, s1
	global_store_dwordx4 v[24:25], v[0:3], off offset:8
.LBB11_169:                             ;   in Loop: Header=BB11_2 Depth=1
	s_or_b32 exec_lo, exec_lo, s14
	s_lshl_b64 s[12:13], s[12:13], 12
	v_and_b32_e32 v18, 0xffff, v42
	v_add_co_u32 v22, vcc_lo, v22, s12
	v_add_co_ci_u32_e64 v23, null, s13, v23, vcc_lo
	v_and_or_b32 v16, 0xffffff1f, v16, 32
	v_mov_b32_e32 v19, v1
	v_readfirstlane_b32 s12, v22
	v_readfirstlane_b32 s13, v23
	v_mov_b32_e32 v29, s11
	v_mov_b32_e32 v28, s10
	;; [unrolled: 1-line block ×4, first 2 shown]
	global_store_dwordx4 v41, v[16:19], s[12:13]
	global_store_dwordx4 v41, v[26:29], s[12:13] offset:16
	global_store_dwordx4 v41, v[26:29], s[12:13] offset:32
	;; [unrolled: 1-line block ×3, first 2 shown]
	s_and_saveexec_b32 s1, s0
	s_cbranch_execz .LBB11_177
; %bb.170:                              ;   in Loop: Header=BB11_2 Depth=1
	s_clause 0x1
	global_load_dwordx2 v[28:29], v1, s[4:5] offset:32 glc dlc
	global_load_dwordx2 v[16:17], v1, s[4:5] offset:40
	v_mov_b32_e32 v26, s6
	v_mov_b32_e32 v27, s7
	s_waitcnt vmcnt(0)
	v_readfirstlane_b32 s12, v16
	v_readfirstlane_b32 s13, v17
	s_and_b64 s[12:13], s[12:13], s[6:7]
	s_mul_i32 s13, s13, 24
	s_mul_hi_u32 s14, s12, 24
	s_mul_i32 s12, s12, 24
	s_add_i32 s14, s14, s13
	v_add_co_u32 v20, vcc_lo, v20, s12
	v_add_co_ci_u32_e64 v21, null, s14, v21, vcc_lo
	s_mov_b32 s12, exec_lo
	global_store_dwordx2 v[20:21], v[28:29], off
	s_waitcnt_vscnt null, 0x0
	global_atomic_cmpswap_x2 v[18:19], v1, v[26:29], s[4:5] offset:32 glc
	s_waitcnt vmcnt(0)
	v_cmpx_ne_u64_e64 v[18:19], v[28:29]
	s_cbranch_execz .LBB11_173
; %bb.171:                              ;   in Loop: Header=BB11_2 Depth=1
	s_mov_b32 s13, 0
.LBB11_172:                             ;   Parent Loop BB11_2 Depth=1
                                        ; =>  This Inner Loop Header: Depth=2
	v_mov_b32_e32 v16, s6
	v_mov_b32_e32 v17, s7
	s_sleep 1
	global_store_dwordx2 v[20:21], v[18:19], off
	s_waitcnt_vscnt null, 0x0
	global_atomic_cmpswap_x2 v[16:17], v1, v[16:19], s[4:5] offset:32 glc
	s_waitcnt vmcnt(0)
	v_cmp_eq_u64_e32 vcc_lo, v[16:17], v[18:19]
	v_mov_b32_e32 v19, v17
	v_mov_b32_e32 v18, v16
	s_or_b32 s13, vcc_lo, s13
	s_andn2_b32 exec_lo, exec_lo, s13
	s_cbranch_execnz .LBB11_172
.LBB11_173:                             ;   in Loop: Header=BB11_2 Depth=1
	s_or_b32 exec_lo, exec_lo, s12
	global_load_dwordx2 v[16:17], v1, s[4:5] offset:16
	s_mov_b32 s13, exec_lo
	s_mov_b32 s12, exec_lo
	v_mbcnt_lo_u32_b32 v0, s13, 0
	v_cmpx_eq_u32_e32 0, v0
	s_cbranch_execz .LBB11_175
; %bb.174:                              ;   in Loop: Header=BB11_2 Depth=1
	s_bcnt1_i32_b32 s13, s13
	v_mov_b32_e32 v0, s13
	s_waitcnt vmcnt(0)
	global_atomic_add_x2 v[16:17], v[0:1], off offset:8
.LBB11_175:                             ;   in Loop: Header=BB11_2 Depth=1
	s_or_b32 exec_lo, exec_lo, s12
	s_waitcnt vmcnt(0)
	global_load_dwordx2 v[18:19], v[16:17], off offset:16
	s_waitcnt vmcnt(0)
	v_cmp_eq_u64_e32 vcc_lo, 0, v[18:19]
	s_cbranch_vccnz .LBB11_177
; %bb.176:                              ;   in Loop: Header=BB11_2 Depth=1
	global_load_dword v0, v[16:17], off offset:24
	s_waitcnt vmcnt(0)
	v_readfirstlane_b32 s12, v0
	s_waitcnt_vscnt null, 0x0
	global_store_dwordx2 v[18:19], v[0:1], off
	s_and_b32 m0, s12, 0x7fffff
	s_sendmsg sendmsg(MSG_INTERRUPT)
.LBB11_177:                             ;   in Loop: Header=BB11_2 Depth=1
	s_or_b32 exec_lo, exec_lo, s1
	v_add_co_u32 v16, vcc_lo, v22, v41
	v_add_co_ci_u32_e64 v17, null, 0, v23, vcc_lo
	s_branch .LBB11_181
	.p2align	6
.LBB11_178:                             ;   in Loop: Header=BB11_181 Depth=2
	s_or_b32 exec_lo, exec_lo, s1
	v_readfirstlane_b32 s1, v0
	s_cmp_eq_u32 s1, 0
	s_cbranch_scc1 .LBB11_180
; %bb.179:                              ;   in Loop: Header=BB11_181 Depth=2
	s_sleep 1
	s_cbranch_execnz .LBB11_181
	s_branch .LBB11_183
	.p2align	6
.LBB11_180:                             ;   in Loop: Header=BB11_2 Depth=1
	s_branch .LBB11_183
.LBB11_181:                             ;   Parent Loop BB11_2 Depth=1
                                        ; =>  This Inner Loop Header: Depth=2
	v_mov_b32_e32 v0, 1
	s_and_saveexec_b32 s1, s0
	s_cbranch_execz .LBB11_178
; %bb.182:                              ;   in Loop: Header=BB11_181 Depth=2
	global_load_dword v0, v[24:25], off offset:20 glc dlc
	s_waitcnt vmcnt(0)
	buffer_gl1_inv
	buffer_gl0_inv
	v_and_b32_e32 v0, 1, v0
	s_branch .LBB11_178
.LBB11_183:                             ;   in Loop: Header=BB11_2 Depth=1
	global_load_dwordx2 v[16:17], v[16:17], off
	s_and_saveexec_b32 s12, s0
	s_cbranch_execz .LBB11_187
; %bb.184:                              ;   in Loop: Header=BB11_2 Depth=1
	s_clause 0x2
	global_load_dwordx2 v[18:19], v1, s[4:5] offset:40
	global_load_dwordx2 v[26:27], v1, s[4:5] offset:24 glc dlc
	global_load_dwordx2 v[20:21], v1, s[4:5]
	s_waitcnt vmcnt(2)
	v_readfirstlane_b32 s14, v18
	v_readfirstlane_b32 s15, v19
	s_add_u32 s13, s14, 1
	s_addc_u32 s16, s15, 0
	s_add_u32 s0, s13, s6
	s_addc_u32 s1, s16, s7
	s_cmp_eq_u64 s[0:1], 0
	s_cselect_b32 s1, s16, s1
	s_cselect_b32 s0, s13, s0
	v_mov_b32_e32 v25, s1
	s_and_b64 s[6:7], s[0:1], s[14:15]
	v_mov_b32_e32 v24, s0
	s_mul_i32 s7, s7, 24
	s_mul_hi_u32 s13, s6, 24
	s_mul_i32 s6, s6, 24
	s_add_i32 s13, s13, s7
	s_waitcnt vmcnt(0)
	v_add_co_u32 v22, vcc_lo, v20, s6
	v_add_co_ci_u32_e64 v23, null, s13, v21, vcc_lo
	global_store_dwordx2 v[22:23], v[26:27], off
	s_waitcnt_vscnt null, 0x0
	global_atomic_cmpswap_x2 v[20:21], v1, v[24:27], s[4:5] offset:24 glc
	s_waitcnt vmcnt(0)
	v_cmp_ne_u64_e32 vcc_lo, v[20:21], v[26:27]
	s_and_b32 exec_lo, exec_lo, vcc_lo
	s_cbranch_execz .LBB11_187
; %bb.185:                              ;   in Loop: Header=BB11_2 Depth=1
	s_mov_b32 s6, 0
.LBB11_186:                             ;   Parent Loop BB11_2 Depth=1
                                        ; =>  This Inner Loop Header: Depth=2
	v_mov_b32_e32 v18, s0
	v_mov_b32_e32 v19, s1
	s_sleep 1
	global_store_dwordx2 v[22:23], v[20:21], off
	s_waitcnt_vscnt null, 0x0
	global_atomic_cmpswap_x2 v[18:19], v1, v[18:21], s[4:5] offset:24 glc
	s_waitcnt vmcnt(0)
	v_cmp_eq_u64_e32 vcc_lo, v[18:19], v[20:21]
	v_mov_b32_e32 v21, v19
	v_mov_b32_e32 v20, v18
	s_or_b32 s6, vcc_lo, s6
	s_andn2_b32 exec_lo, exec_lo, s6
	s_cbranch_execnz .LBB11_186
.LBB11_187:                             ;   in Loop: Header=BB11_2 Depth=1
	s_or_b32 exec_lo, exec_lo, s12
	v_readfirstlane_b32 s0, v40
	v_mov_b32_e32 v18, 0
	v_mov_b32_e32 v19, 0
	v_cmp_eq_u32_e64 s0, s0, v40
	s_and_saveexec_b32 s1, s0
	s_cbranch_execz .LBB11_193
; %bb.188:                              ;   in Loop: Header=BB11_2 Depth=1
	global_load_dwordx2 v[20:21], v1, s[4:5] offset:24 glc dlc
	s_waitcnt vmcnt(0)
	buffer_gl1_inv
	buffer_gl0_inv
	s_clause 0x1
	global_load_dwordx2 v[18:19], v1, s[4:5] offset:40
	global_load_dwordx2 v[22:23], v1, s[4:5]
	s_mov_b32 s6, exec_lo
	s_waitcnt vmcnt(1)
	v_and_b32_e32 v0, v19, v21
	v_and_b32_e32 v18, v18, v20
	v_mul_lo_u32 v0, v0, 24
	v_mul_hi_u32 v19, v18, 24
	v_mul_lo_u32 v18, v18, 24
	v_add_nc_u32_e32 v0, v19, v0
	s_waitcnt vmcnt(0)
	v_add_co_u32 v18, vcc_lo, v22, v18
	v_add_co_ci_u32_e64 v19, null, v23, v0, vcc_lo
	global_load_dwordx2 v[18:19], v[18:19], off glc dlc
	s_waitcnt vmcnt(0)
	global_atomic_cmpswap_x2 v[18:19], v1, v[18:21], s[4:5] offset:24 glc
	s_waitcnt vmcnt(0)
	buffer_gl1_inv
	buffer_gl0_inv
	v_cmpx_ne_u64_e64 v[18:19], v[20:21]
	s_cbranch_execz .LBB11_192
; %bb.189:                              ;   in Loop: Header=BB11_2 Depth=1
	s_mov_b32 s7, 0
	.p2align	6
.LBB11_190:                             ;   Parent Loop BB11_2 Depth=1
                                        ; =>  This Inner Loop Header: Depth=2
	s_sleep 1
	s_clause 0x1
	global_load_dwordx2 v[22:23], v1, s[4:5] offset:40
	global_load_dwordx2 v[24:25], v1, s[4:5]
	v_mov_b32_e32 v21, v19
	v_mov_b32_e32 v20, v18
	s_waitcnt vmcnt(1)
	v_and_b32_e32 v0, v22, v20
	v_and_b32_e32 v22, v23, v21
	s_waitcnt vmcnt(0)
	v_mad_u64_u32 v[18:19], null, v0, 24, v[24:25]
	v_mov_b32_e32 v0, v19
	v_mad_u64_u32 v[22:23], null, v22, 24, v[0:1]
	v_mov_b32_e32 v19, v22
	global_load_dwordx2 v[18:19], v[18:19], off glc dlc
	s_waitcnt vmcnt(0)
	global_atomic_cmpswap_x2 v[18:19], v1, v[18:21], s[4:5] offset:24 glc
	s_waitcnt vmcnt(0)
	buffer_gl1_inv
	buffer_gl0_inv
	v_cmp_eq_u64_e32 vcc_lo, v[18:19], v[20:21]
	s_or_b32 s7, vcc_lo, s7
	s_andn2_b32 exec_lo, exec_lo, s7
	s_cbranch_execnz .LBB11_190
; %bb.191:                              ;   in Loop: Header=BB11_2 Depth=1
	s_or_b32 exec_lo, exec_lo, s7
.LBB11_192:                             ;   in Loop: Header=BB11_2 Depth=1
	s_or_b32 exec_lo, exec_lo, s6
.LBB11_193:                             ;   in Loop: Header=BB11_2 Depth=1
	s_or_b32 exec_lo, exec_lo, s1
	s_clause 0x1
	global_load_dwordx2 v[24:25], v1, s[4:5] offset:40
	global_load_dwordx4 v[20:23], v1, s[4:5]
	v_readfirstlane_b32 s7, v19
	v_readfirstlane_b32 s6, v18
	s_mov_b32 s1, exec_lo
	s_waitcnt vmcnt(1)
	v_readfirstlane_b32 s12, v24
	v_readfirstlane_b32 s13, v25
	s_and_b64 s[12:13], s[12:13], s[6:7]
	s_mul_i32 s14, s13, 24
	s_mul_hi_u32 s15, s12, 24
	s_mul_i32 s16, s12, 24
	s_add_i32 s15, s15, s14
	s_waitcnt vmcnt(0)
	v_add_co_u32 v24, vcc_lo, v20, s16
	v_add_co_ci_u32_e64 v25, null, s15, v21, vcc_lo
	s_and_saveexec_b32 s14, s0
	s_cbranch_execz .LBB11_195
; %bb.194:                              ;   in Loop: Header=BB11_2 Depth=1
	v_mov_b32_e32 v0, s1
	global_store_dwordx4 v[24:25], v[0:3], off offset:8
.LBB11_195:                             ;   in Loop: Header=BB11_2 Depth=1
	s_or_b32 exec_lo, exec_lo, s14
	s_lshl_b64 s[12:13], s[12:13], 12
	v_and_b32_e32 v18, 0xff, v43
	v_add_co_u32 v22, vcc_lo, v22, s12
	v_add_co_ci_u32_e64 v23, null, s13, v23, vcc_lo
	v_and_or_b32 v16, 0xffffff1f, v16, 32
	v_mov_b32_e32 v19, v1
	v_readfirstlane_b32 s12, v22
	v_readfirstlane_b32 s13, v23
	v_mov_b32_e32 v29, s11
	v_mov_b32_e32 v28, s10
	;; [unrolled: 1-line block ×4, first 2 shown]
	global_store_dwordx4 v41, v[16:19], s[12:13]
	global_store_dwordx4 v41, v[26:29], s[12:13] offset:16
	global_store_dwordx4 v41, v[26:29], s[12:13] offset:32
	;; [unrolled: 1-line block ×3, first 2 shown]
	s_and_saveexec_b32 s1, s0
	s_cbranch_execz .LBB11_203
; %bb.196:                              ;   in Loop: Header=BB11_2 Depth=1
	s_clause 0x1
	global_load_dwordx2 v[28:29], v1, s[4:5] offset:32 glc dlc
	global_load_dwordx2 v[16:17], v1, s[4:5] offset:40
	v_mov_b32_e32 v26, s6
	v_mov_b32_e32 v27, s7
	s_waitcnt vmcnt(0)
	v_readfirstlane_b32 s12, v16
	v_readfirstlane_b32 s13, v17
	s_and_b64 s[12:13], s[12:13], s[6:7]
	s_mul_i32 s13, s13, 24
	s_mul_hi_u32 s14, s12, 24
	s_mul_i32 s12, s12, 24
	s_add_i32 s14, s14, s13
	v_add_co_u32 v20, vcc_lo, v20, s12
	v_add_co_ci_u32_e64 v21, null, s14, v21, vcc_lo
	s_mov_b32 s12, exec_lo
	global_store_dwordx2 v[20:21], v[28:29], off
	s_waitcnt_vscnt null, 0x0
	global_atomic_cmpswap_x2 v[18:19], v1, v[26:29], s[4:5] offset:32 glc
	s_waitcnt vmcnt(0)
	v_cmpx_ne_u64_e64 v[18:19], v[28:29]
	s_cbranch_execz .LBB11_199
; %bb.197:                              ;   in Loop: Header=BB11_2 Depth=1
	s_mov_b32 s13, 0
.LBB11_198:                             ;   Parent Loop BB11_2 Depth=1
                                        ; =>  This Inner Loop Header: Depth=2
	v_mov_b32_e32 v16, s6
	v_mov_b32_e32 v17, s7
	s_sleep 1
	global_store_dwordx2 v[20:21], v[18:19], off
	s_waitcnt_vscnt null, 0x0
	global_atomic_cmpswap_x2 v[16:17], v1, v[16:19], s[4:5] offset:32 glc
	s_waitcnt vmcnt(0)
	v_cmp_eq_u64_e32 vcc_lo, v[16:17], v[18:19]
	v_mov_b32_e32 v19, v17
	v_mov_b32_e32 v18, v16
	s_or_b32 s13, vcc_lo, s13
	s_andn2_b32 exec_lo, exec_lo, s13
	s_cbranch_execnz .LBB11_198
.LBB11_199:                             ;   in Loop: Header=BB11_2 Depth=1
	s_or_b32 exec_lo, exec_lo, s12
	global_load_dwordx2 v[16:17], v1, s[4:5] offset:16
	s_mov_b32 s13, exec_lo
	s_mov_b32 s12, exec_lo
	v_mbcnt_lo_u32_b32 v0, s13, 0
	v_cmpx_eq_u32_e32 0, v0
	s_cbranch_execz .LBB11_201
; %bb.200:                              ;   in Loop: Header=BB11_2 Depth=1
	s_bcnt1_i32_b32 s13, s13
	v_mov_b32_e32 v0, s13
	s_waitcnt vmcnt(0)
	global_atomic_add_x2 v[16:17], v[0:1], off offset:8
.LBB11_201:                             ;   in Loop: Header=BB11_2 Depth=1
	s_or_b32 exec_lo, exec_lo, s12
	s_waitcnt vmcnt(0)
	global_load_dwordx2 v[18:19], v[16:17], off offset:16
	s_waitcnt vmcnt(0)
	v_cmp_eq_u64_e32 vcc_lo, 0, v[18:19]
	s_cbranch_vccnz .LBB11_203
; %bb.202:                              ;   in Loop: Header=BB11_2 Depth=1
	global_load_dword v0, v[16:17], off offset:24
	s_waitcnt vmcnt(0)
	v_readfirstlane_b32 s12, v0
	s_waitcnt_vscnt null, 0x0
	global_store_dwordx2 v[18:19], v[0:1], off
	s_and_b32 m0, s12, 0x7fffff
	s_sendmsg sendmsg(MSG_INTERRUPT)
.LBB11_203:                             ;   in Loop: Header=BB11_2 Depth=1
	s_or_b32 exec_lo, exec_lo, s1
	v_add_co_u32 v16, vcc_lo, v22, v41
	v_add_co_ci_u32_e64 v17, null, 0, v23, vcc_lo
	s_branch .LBB11_207
	.p2align	6
.LBB11_204:                             ;   in Loop: Header=BB11_207 Depth=2
	s_or_b32 exec_lo, exec_lo, s1
	v_readfirstlane_b32 s1, v0
	s_cmp_eq_u32 s1, 0
	s_cbranch_scc1 .LBB11_206
; %bb.205:                              ;   in Loop: Header=BB11_207 Depth=2
	s_sleep 1
	s_cbranch_execnz .LBB11_207
	s_branch .LBB11_209
	.p2align	6
.LBB11_206:                             ;   in Loop: Header=BB11_2 Depth=1
	s_branch .LBB11_209
.LBB11_207:                             ;   Parent Loop BB11_2 Depth=1
                                        ; =>  This Inner Loop Header: Depth=2
	v_mov_b32_e32 v0, 1
	s_and_saveexec_b32 s1, s0
	s_cbranch_execz .LBB11_204
; %bb.208:                              ;   in Loop: Header=BB11_207 Depth=2
	global_load_dword v0, v[24:25], off offset:20 glc dlc
	s_waitcnt vmcnt(0)
	buffer_gl1_inv
	buffer_gl0_inv
	v_and_b32_e32 v0, 1, v0
	s_branch .LBB11_204
.LBB11_209:                             ;   in Loop: Header=BB11_2 Depth=1
	global_load_dwordx2 v[16:17], v[16:17], off
	s_and_saveexec_b32 s12, s0
	s_cbranch_execz .LBB11_213
; %bb.210:                              ;   in Loop: Header=BB11_2 Depth=1
	s_clause 0x2
	global_load_dwordx2 v[18:19], v1, s[4:5] offset:40
	global_load_dwordx2 v[26:27], v1, s[4:5] offset:24 glc dlc
	global_load_dwordx2 v[20:21], v1, s[4:5]
	s_waitcnt vmcnt(2)
	v_readfirstlane_b32 s14, v18
	v_readfirstlane_b32 s15, v19
	s_add_u32 s13, s14, 1
	s_addc_u32 s16, s15, 0
	s_add_u32 s0, s13, s6
	s_addc_u32 s1, s16, s7
	s_cmp_eq_u64 s[0:1], 0
	s_cselect_b32 s1, s16, s1
	s_cselect_b32 s0, s13, s0
	v_mov_b32_e32 v25, s1
	s_and_b64 s[6:7], s[0:1], s[14:15]
	v_mov_b32_e32 v24, s0
	s_mul_i32 s7, s7, 24
	s_mul_hi_u32 s13, s6, 24
	s_mul_i32 s6, s6, 24
	s_add_i32 s13, s13, s7
	s_waitcnt vmcnt(0)
	v_add_co_u32 v22, vcc_lo, v20, s6
	v_add_co_ci_u32_e64 v23, null, s13, v21, vcc_lo
	global_store_dwordx2 v[22:23], v[26:27], off
	s_waitcnt_vscnt null, 0x0
	global_atomic_cmpswap_x2 v[20:21], v1, v[24:27], s[4:5] offset:24 glc
	s_waitcnt vmcnt(0)
	v_cmp_ne_u64_e32 vcc_lo, v[20:21], v[26:27]
	s_and_b32 exec_lo, exec_lo, vcc_lo
	s_cbranch_execz .LBB11_213
; %bb.211:                              ;   in Loop: Header=BB11_2 Depth=1
	s_mov_b32 s6, 0
.LBB11_212:                             ;   Parent Loop BB11_2 Depth=1
                                        ; =>  This Inner Loop Header: Depth=2
	v_mov_b32_e32 v18, s0
	v_mov_b32_e32 v19, s1
	s_sleep 1
	global_store_dwordx2 v[22:23], v[20:21], off
	s_waitcnt_vscnt null, 0x0
	global_atomic_cmpswap_x2 v[18:19], v1, v[18:21], s[4:5] offset:24 glc
	s_waitcnt vmcnt(0)
	v_cmp_eq_u64_e32 vcc_lo, v[18:19], v[20:21]
	v_mov_b32_e32 v21, v19
	v_mov_b32_e32 v20, v18
	s_or_b32 s6, vcc_lo, s6
	s_andn2_b32 exec_lo, exec_lo, s6
	s_cbranch_execnz .LBB11_212
.LBB11_213:                             ;   in Loop: Header=BB11_2 Depth=1
	s_or_b32 exec_lo, exec_lo, s12
	v_readfirstlane_b32 s0, v40
	v_mov_b32_e32 v18, 0
	v_mov_b32_e32 v19, 0
	v_cmp_eq_u32_e64 s0, s0, v40
	s_and_saveexec_b32 s1, s0
	s_cbranch_execz .LBB11_219
; %bb.214:                              ;   in Loop: Header=BB11_2 Depth=1
	global_load_dwordx2 v[20:21], v1, s[4:5] offset:24 glc dlc
	s_waitcnt vmcnt(0)
	buffer_gl1_inv
	buffer_gl0_inv
	s_clause 0x1
	global_load_dwordx2 v[18:19], v1, s[4:5] offset:40
	global_load_dwordx2 v[22:23], v1, s[4:5]
	s_mov_b32 s6, exec_lo
	s_waitcnt vmcnt(1)
	v_and_b32_e32 v0, v19, v21
	v_and_b32_e32 v18, v18, v20
	v_mul_lo_u32 v0, v0, 24
	v_mul_hi_u32 v19, v18, 24
	v_mul_lo_u32 v18, v18, 24
	v_add_nc_u32_e32 v0, v19, v0
	s_waitcnt vmcnt(0)
	v_add_co_u32 v18, vcc_lo, v22, v18
	v_add_co_ci_u32_e64 v19, null, v23, v0, vcc_lo
	global_load_dwordx2 v[18:19], v[18:19], off glc dlc
	s_waitcnt vmcnt(0)
	global_atomic_cmpswap_x2 v[18:19], v1, v[18:21], s[4:5] offset:24 glc
	s_waitcnt vmcnt(0)
	buffer_gl1_inv
	buffer_gl0_inv
	v_cmpx_ne_u64_e64 v[18:19], v[20:21]
	s_cbranch_execz .LBB11_218
; %bb.215:                              ;   in Loop: Header=BB11_2 Depth=1
	s_mov_b32 s7, 0
	.p2align	6
.LBB11_216:                             ;   Parent Loop BB11_2 Depth=1
                                        ; =>  This Inner Loop Header: Depth=2
	s_sleep 1
	s_clause 0x1
	global_load_dwordx2 v[22:23], v1, s[4:5] offset:40
	global_load_dwordx2 v[24:25], v1, s[4:5]
	v_mov_b32_e32 v21, v19
	v_mov_b32_e32 v20, v18
	s_waitcnt vmcnt(1)
	v_and_b32_e32 v0, v22, v20
	v_and_b32_e32 v22, v23, v21
	s_waitcnt vmcnt(0)
	v_mad_u64_u32 v[18:19], null, v0, 24, v[24:25]
	v_mov_b32_e32 v0, v19
	v_mad_u64_u32 v[22:23], null, v22, 24, v[0:1]
	v_mov_b32_e32 v19, v22
	global_load_dwordx2 v[18:19], v[18:19], off glc dlc
	s_waitcnt vmcnt(0)
	global_atomic_cmpswap_x2 v[18:19], v1, v[18:21], s[4:5] offset:24 glc
	s_waitcnt vmcnt(0)
	buffer_gl1_inv
	buffer_gl0_inv
	v_cmp_eq_u64_e32 vcc_lo, v[18:19], v[20:21]
	s_or_b32 s7, vcc_lo, s7
	s_andn2_b32 exec_lo, exec_lo, s7
	s_cbranch_execnz .LBB11_216
; %bb.217:                              ;   in Loop: Header=BB11_2 Depth=1
	s_or_b32 exec_lo, exec_lo, s7
.LBB11_218:                             ;   in Loop: Header=BB11_2 Depth=1
	s_or_b32 exec_lo, exec_lo, s6
.LBB11_219:                             ;   in Loop: Header=BB11_2 Depth=1
	s_or_b32 exec_lo, exec_lo, s1
	s_clause 0x1
	global_load_dwordx2 v[24:25], v1, s[4:5] offset:40
	global_load_dwordx4 v[20:23], v1, s[4:5]
	v_readfirstlane_b32 s7, v19
	v_readfirstlane_b32 s6, v18
	s_mov_b32 s1, exec_lo
	s_waitcnt vmcnt(1)
	v_readfirstlane_b32 s12, v24
	v_readfirstlane_b32 s13, v25
	s_and_b64 s[12:13], s[12:13], s[6:7]
	s_mul_i32 s14, s13, 24
	s_mul_hi_u32 s15, s12, 24
	s_mul_i32 s16, s12, 24
	s_add_i32 s15, s15, s14
	s_waitcnt vmcnt(0)
	v_add_co_u32 v24, vcc_lo, v20, s16
	v_add_co_ci_u32_e64 v25, null, s15, v21, vcc_lo
	s_and_saveexec_b32 s14, s0
	s_cbranch_execz .LBB11_221
; %bb.220:                              ;   in Loop: Header=BB11_2 Depth=1
	v_mov_b32_e32 v0, s1
	global_store_dwordx4 v[24:25], v[0:3], off offset:8
.LBB11_221:                             ;   in Loop: Header=BB11_2 Depth=1
	s_or_b32 exec_lo, exec_lo, s14
	s_lshl_b64 s[12:13], s[12:13], 12
	v_bfe_u32 v18, v42, 27, 4
	v_add_co_u32 v22, vcc_lo, v22, s12
	v_add_co_ci_u32_e64 v23, null, s13, v23, vcc_lo
	v_and_or_b32 v16, 0xffffff1f, v16, 32
	v_mov_b32_e32 v19, v1
	v_readfirstlane_b32 s12, v22
	v_readfirstlane_b32 s13, v23
	v_mov_b32_e32 v29, s11
	v_mov_b32_e32 v28, s10
	;; [unrolled: 1-line block ×4, first 2 shown]
	global_store_dwordx4 v41, v[16:19], s[12:13]
	global_store_dwordx4 v41, v[26:29], s[12:13] offset:16
	global_store_dwordx4 v41, v[26:29], s[12:13] offset:32
	;; [unrolled: 1-line block ×3, first 2 shown]
	s_and_saveexec_b32 s1, s0
	s_cbranch_execz .LBB11_229
; %bb.222:                              ;   in Loop: Header=BB11_2 Depth=1
	s_clause 0x1
	global_load_dwordx2 v[28:29], v1, s[4:5] offset:32 glc dlc
	global_load_dwordx2 v[16:17], v1, s[4:5] offset:40
	v_mov_b32_e32 v26, s6
	v_mov_b32_e32 v27, s7
	s_waitcnt vmcnt(0)
	v_readfirstlane_b32 s12, v16
	v_readfirstlane_b32 s13, v17
	s_and_b64 s[12:13], s[12:13], s[6:7]
	s_mul_i32 s13, s13, 24
	s_mul_hi_u32 s14, s12, 24
	s_mul_i32 s12, s12, 24
	s_add_i32 s14, s14, s13
	v_add_co_u32 v20, vcc_lo, v20, s12
	v_add_co_ci_u32_e64 v21, null, s14, v21, vcc_lo
	s_mov_b32 s12, exec_lo
	global_store_dwordx2 v[20:21], v[28:29], off
	s_waitcnt_vscnt null, 0x0
	global_atomic_cmpswap_x2 v[18:19], v1, v[26:29], s[4:5] offset:32 glc
	s_waitcnt vmcnt(0)
	v_cmpx_ne_u64_e64 v[18:19], v[28:29]
	s_cbranch_execz .LBB11_225
; %bb.223:                              ;   in Loop: Header=BB11_2 Depth=1
	s_mov_b32 s13, 0
.LBB11_224:                             ;   Parent Loop BB11_2 Depth=1
                                        ; =>  This Inner Loop Header: Depth=2
	v_mov_b32_e32 v16, s6
	v_mov_b32_e32 v17, s7
	s_sleep 1
	global_store_dwordx2 v[20:21], v[18:19], off
	s_waitcnt_vscnt null, 0x0
	global_atomic_cmpswap_x2 v[16:17], v1, v[16:19], s[4:5] offset:32 glc
	s_waitcnt vmcnt(0)
	v_cmp_eq_u64_e32 vcc_lo, v[16:17], v[18:19]
	v_mov_b32_e32 v19, v17
	v_mov_b32_e32 v18, v16
	s_or_b32 s13, vcc_lo, s13
	s_andn2_b32 exec_lo, exec_lo, s13
	s_cbranch_execnz .LBB11_224
.LBB11_225:                             ;   in Loop: Header=BB11_2 Depth=1
	s_or_b32 exec_lo, exec_lo, s12
	global_load_dwordx2 v[16:17], v1, s[4:5] offset:16
	s_mov_b32 s13, exec_lo
	s_mov_b32 s12, exec_lo
	v_mbcnt_lo_u32_b32 v0, s13, 0
	v_cmpx_eq_u32_e32 0, v0
	s_cbranch_execz .LBB11_227
; %bb.226:                              ;   in Loop: Header=BB11_2 Depth=1
	s_bcnt1_i32_b32 s13, s13
	v_mov_b32_e32 v0, s13
	s_waitcnt vmcnt(0)
	global_atomic_add_x2 v[16:17], v[0:1], off offset:8
.LBB11_227:                             ;   in Loop: Header=BB11_2 Depth=1
	s_or_b32 exec_lo, exec_lo, s12
	s_waitcnt vmcnt(0)
	global_load_dwordx2 v[18:19], v[16:17], off offset:16
	s_waitcnt vmcnt(0)
	v_cmp_eq_u64_e32 vcc_lo, 0, v[18:19]
	s_cbranch_vccnz .LBB11_229
; %bb.228:                              ;   in Loop: Header=BB11_2 Depth=1
	global_load_dword v0, v[16:17], off offset:24
	s_waitcnt vmcnt(0)
	v_readfirstlane_b32 s12, v0
	s_waitcnt_vscnt null, 0x0
	global_store_dwordx2 v[18:19], v[0:1], off
	s_and_b32 m0, s12, 0x7fffff
	s_sendmsg sendmsg(MSG_INTERRUPT)
.LBB11_229:                             ;   in Loop: Header=BB11_2 Depth=1
	s_or_b32 exec_lo, exec_lo, s1
	v_add_co_u32 v16, vcc_lo, v22, v41
	v_add_co_ci_u32_e64 v17, null, 0, v23, vcc_lo
	s_branch .LBB11_233
	.p2align	6
.LBB11_230:                             ;   in Loop: Header=BB11_233 Depth=2
	s_or_b32 exec_lo, exec_lo, s1
	v_readfirstlane_b32 s1, v0
	s_cmp_eq_u32 s1, 0
	s_cbranch_scc1 .LBB11_232
; %bb.231:                              ;   in Loop: Header=BB11_233 Depth=2
	s_sleep 1
	s_cbranch_execnz .LBB11_233
	s_branch .LBB11_235
	.p2align	6
.LBB11_232:                             ;   in Loop: Header=BB11_2 Depth=1
	s_branch .LBB11_235
.LBB11_233:                             ;   Parent Loop BB11_2 Depth=1
                                        ; =>  This Inner Loop Header: Depth=2
	v_mov_b32_e32 v0, 1
	s_and_saveexec_b32 s1, s0
	s_cbranch_execz .LBB11_230
; %bb.234:                              ;   in Loop: Header=BB11_233 Depth=2
	global_load_dword v0, v[24:25], off offset:20 glc dlc
	s_waitcnt vmcnt(0)
	buffer_gl1_inv
	buffer_gl0_inv
	v_and_b32_e32 v0, 1, v0
	s_branch .LBB11_230
.LBB11_235:                             ;   in Loop: Header=BB11_2 Depth=1
	global_load_dwordx2 v[16:17], v[16:17], off
	s_and_saveexec_b32 s12, s0
	s_cbranch_execz .LBB11_239
; %bb.236:                              ;   in Loop: Header=BB11_2 Depth=1
	s_clause 0x2
	global_load_dwordx2 v[18:19], v1, s[4:5] offset:40
	global_load_dwordx2 v[26:27], v1, s[4:5] offset:24 glc dlc
	global_load_dwordx2 v[20:21], v1, s[4:5]
	s_waitcnt vmcnt(2)
	v_readfirstlane_b32 s14, v18
	v_readfirstlane_b32 s15, v19
	s_add_u32 s13, s14, 1
	s_addc_u32 s16, s15, 0
	s_add_u32 s0, s13, s6
	s_addc_u32 s1, s16, s7
	s_cmp_eq_u64 s[0:1], 0
	s_cselect_b32 s1, s16, s1
	s_cselect_b32 s0, s13, s0
	v_mov_b32_e32 v25, s1
	s_and_b64 s[6:7], s[0:1], s[14:15]
	v_mov_b32_e32 v24, s0
	s_mul_i32 s7, s7, 24
	s_mul_hi_u32 s13, s6, 24
	s_mul_i32 s6, s6, 24
	s_add_i32 s13, s13, s7
	s_waitcnt vmcnt(0)
	v_add_co_u32 v22, vcc_lo, v20, s6
	v_add_co_ci_u32_e64 v23, null, s13, v21, vcc_lo
	global_store_dwordx2 v[22:23], v[26:27], off
	s_waitcnt_vscnt null, 0x0
	global_atomic_cmpswap_x2 v[20:21], v1, v[24:27], s[4:5] offset:24 glc
	s_waitcnt vmcnt(0)
	v_cmp_ne_u64_e32 vcc_lo, v[20:21], v[26:27]
	s_and_b32 exec_lo, exec_lo, vcc_lo
	s_cbranch_execz .LBB11_239
; %bb.237:                              ;   in Loop: Header=BB11_2 Depth=1
	s_mov_b32 s6, 0
.LBB11_238:                             ;   Parent Loop BB11_2 Depth=1
                                        ; =>  This Inner Loop Header: Depth=2
	v_mov_b32_e32 v18, s0
	v_mov_b32_e32 v19, s1
	s_sleep 1
	global_store_dwordx2 v[22:23], v[20:21], off
	s_waitcnt_vscnt null, 0x0
	global_atomic_cmpswap_x2 v[18:19], v1, v[18:21], s[4:5] offset:24 glc
	s_waitcnt vmcnt(0)
	v_cmp_eq_u64_e32 vcc_lo, v[18:19], v[20:21]
	v_mov_b32_e32 v21, v19
	v_mov_b32_e32 v20, v18
	s_or_b32 s6, vcc_lo, s6
	s_andn2_b32 exec_lo, exec_lo, s6
	s_cbranch_execnz .LBB11_238
.LBB11_239:                             ;   in Loop: Header=BB11_2 Depth=1
	s_or_b32 exec_lo, exec_lo, s12
	v_readfirstlane_b32 s0, v40
	v_mov_b32_e32 v18, 0
	v_mov_b32_e32 v19, 0
	v_cmp_eq_u32_e64 s0, s0, v40
	s_and_saveexec_b32 s1, s0
	s_cbranch_execz .LBB11_245
; %bb.240:                              ;   in Loop: Header=BB11_2 Depth=1
	global_load_dwordx2 v[20:21], v1, s[4:5] offset:24 glc dlc
	s_waitcnt vmcnt(0)
	buffer_gl1_inv
	buffer_gl0_inv
	s_clause 0x1
	global_load_dwordx2 v[18:19], v1, s[4:5] offset:40
	global_load_dwordx2 v[22:23], v1, s[4:5]
	s_mov_b32 s6, exec_lo
	s_waitcnt vmcnt(1)
	v_and_b32_e32 v0, v19, v21
	v_and_b32_e32 v18, v18, v20
	v_mul_lo_u32 v0, v0, 24
	v_mul_hi_u32 v19, v18, 24
	v_mul_lo_u32 v18, v18, 24
	v_add_nc_u32_e32 v0, v19, v0
	s_waitcnt vmcnt(0)
	v_add_co_u32 v18, vcc_lo, v22, v18
	v_add_co_ci_u32_e64 v19, null, v23, v0, vcc_lo
	global_load_dwordx2 v[18:19], v[18:19], off glc dlc
	s_waitcnt vmcnt(0)
	global_atomic_cmpswap_x2 v[18:19], v1, v[18:21], s[4:5] offset:24 glc
	s_waitcnt vmcnt(0)
	buffer_gl1_inv
	buffer_gl0_inv
	v_cmpx_ne_u64_e64 v[18:19], v[20:21]
	s_cbranch_execz .LBB11_244
; %bb.241:                              ;   in Loop: Header=BB11_2 Depth=1
	s_mov_b32 s7, 0
	.p2align	6
.LBB11_242:                             ;   Parent Loop BB11_2 Depth=1
                                        ; =>  This Inner Loop Header: Depth=2
	s_sleep 1
	s_clause 0x1
	global_load_dwordx2 v[22:23], v1, s[4:5] offset:40
	global_load_dwordx2 v[24:25], v1, s[4:5]
	v_mov_b32_e32 v21, v19
	v_mov_b32_e32 v20, v18
	s_waitcnt vmcnt(1)
	v_and_b32_e32 v0, v22, v20
	v_and_b32_e32 v22, v23, v21
	s_waitcnt vmcnt(0)
	v_mad_u64_u32 v[18:19], null, v0, 24, v[24:25]
	v_mov_b32_e32 v0, v19
	v_mad_u64_u32 v[22:23], null, v22, 24, v[0:1]
	v_mov_b32_e32 v19, v22
	global_load_dwordx2 v[18:19], v[18:19], off glc dlc
	s_waitcnt vmcnt(0)
	global_atomic_cmpswap_x2 v[18:19], v1, v[18:21], s[4:5] offset:24 glc
	s_waitcnt vmcnt(0)
	buffer_gl1_inv
	buffer_gl0_inv
	v_cmp_eq_u64_e32 vcc_lo, v[18:19], v[20:21]
	s_or_b32 s7, vcc_lo, s7
	s_andn2_b32 exec_lo, exec_lo, s7
	s_cbranch_execnz .LBB11_242
; %bb.243:                              ;   in Loop: Header=BB11_2 Depth=1
	s_or_b32 exec_lo, exec_lo, s7
.LBB11_244:                             ;   in Loop: Header=BB11_2 Depth=1
	s_or_b32 exec_lo, exec_lo, s6
.LBB11_245:                             ;   in Loop: Header=BB11_2 Depth=1
	s_or_b32 exec_lo, exec_lo, s1
	s_clause 0x1
	global_load_dwordx2 v[24:25], v1, s[4:5] offset:40
	global_load_dwordx4 v[20:23], v1, s[4:5]
	v_readfirstlane_b32 s7, v19
	v_readfirstlane_b32 s6, v18
	s_mov_b32 s1, exec_lo
	s_waitcnt vmcnt(1)
	v_readfirstlane_b32 s12, v24
	v_readfirstlane_b32 s13, v25
	s_and_b64 s[12:13], s[12:13], s[6:7]
	s_mul_i32 s14, s13, 24
	s_mul_hi_u32 s15, s12, 24
	s_mul_i32 s16, s12, 24
	s_add_i32 s15, s15, s14
	s_waitcnt vmcnt(0)
	v_add_co_u32 v24, vcc_lo, v20, s16
	v_add_co_ci_u32_e64 v25, null, s15, v21, vcc_lo
	s_and_saveexec_b32 s14, s0
	s_cbranch_execz .LBB11_247
; %bb.246:                              ;   in Loop: Header=BB11_2 Depth=1
	v_mov_b32_e32 v0, s1
	global_store_dwordx4 v[24:25], v[0:3], off offset:8
.LBB11_247:                             ;   in Loop: Header=BB11_2 Depth=1
	s_or_b32 exec_lo, exec_lo, s14
	s_lshl_b64 s[12:13], s[12:13], 12
	v_and_or_b32 v16, 0xffffff1f, v16, 32
	v_add_co_u32 v22, vcc_lo, v22, s12
	v_add_co_ci_u32_e64 v23, null, s13, v23, vcc_lo
	v_mov_b32_e32 v18, v12
	v_mov_b32_e32 v19, v1
	v_readfirstlane_b32 s12, v22
	v_readfirstlane_b32 s13, v23
	v_mov_b32_e32 v29, s11
	v_mov_b32_e32 v28, s10
	;; [unrolled: 1-line block ×4, first 2 shown]
	global_store_dwordx4 v41, v[16:19], s[12:13]
	global_store_dwordx4 v41, v[26:29], s[12:13] offset:16
	global_store_dwordx4 v41, v[26:29], s[12:13] offset:32
	;; [unrolled: 1-line block ×3, first 2 shown]
	s_and_saveexec_b32 s1, s0
	s_cbranch_execz .LBB11_255
; %bb.248:                              ;   in Loop: Header=BB11_2 Depth=1
	s_clause 0x1
	global_load_dwordx2 v[28:29], v1, s[4:5] offset:32 glc dlc
	global_load_dwordx2 v[16:17], v1, s[4:5] offset:40
	v_mov_b32_e32 v26, s6
	v_mov_b32_e32 v27, s7
	s_waitcnt vmcnt(0)
	v_readfirstlane_b32 s12, v16
	v_readfirstlane_b32 s13, v17
	s_and_b64 s[12:13], s[12:13], s[6:7]
	s_mul_i32 s13, s13, 24
	s_mul_hi_u32 s14, s12, 24
	s_mul_i32 s12, s12, 24
	s_add_i32 s14, s14, s13
	v_add_co_u32 v20, vcc_lo, v20, s12
	v_add_co_ci_u32_e64 v21, null, s14, v21, vcc_lo
	s_mov_b32 s12, exec_lo
	global_store_dwordx2 v[20:21], v[28:29], off
	s_waitcnt_vscnt null, 0x0
	global_atomic_cmpswap_x2 v[18:19], v1, v[26:29], s[4:5] offset:32 glc
	s_waitcnt vmcnt(0)
	v_cmpx_ne_u64_e64 v[18:19], v[28:29]
	s_cbranch_execz .LBB11_251
; %bb.249:                              ;   in Loop: Header=BB11_2 Depth=1
	s_mov_b32 s13, 0
.LBB11_250:                             ;   Parent Loop BB11_2 Depth=1
                                        ; =>  This Inner Loop Header: Depth=2
	v_mov_b32_e32 v16, s6
	v_mov_b32_e32 v17, s7
	s_sleep 1
	global_store_dwordx2 v[20:21], v[18:19], off
	s_waitcnt_vscnt null, 0x0
	global_atomic_cmpswap_x2 v[16:17], v1, v[16:19], s[4:5] offset:32 glc
	s_waitcnt vmcnt(0)
	v_cmp_eq_u64_e32 vcc_lo, v[16:17], v[18:19]
	v_mov_b32_e32 v19, v17
	v_mov_b32_e32 v18, v16
	s_or_b32 s13, vcc_lo, s13
	s_andn2_b32 exec_lo, exec_lo, s13
	s_cbranch_execnz .LBB11_250
.LBB11_251:                             ;   in Loop: Header=BB11_2 Depth=1
	s_or_b32 exec_lo, exec_lo, s12
	global_load_dwordx2 v[16:17], v1, s[4:5] offset:16
	s_mov_b32 s13, exec_lo
	s_mov_b32 s12, exec_lo
	v_mbcnt_lo_u32_b32 v0, s13, 0
	v_cmpx_eq_u32_e32 0, v0
	s_cbranch_execz .LBB11_253
; %bb.252:                              ;   in Loop: Header=BB11_2 Depth=1
	s_bcnt1_i32_b32 s13, s13
	v_mov_b32_e32 v0, s13
	s_waitcnt vmcnt(0)
	global_atomic_add_x2 v[16:17], v[0:1], off offset:8
.LBB11_253:                             ;   in Loop: Header=BB11_2 Depth=1
	s_or_b32 exec_lo, exec_lo, s12
	s_waitcnt vmcnt(0)
	global_load_dwordx2 v[18:19], v[16:17], off offset:16
	s_waitcnt vmcnt(0)
	v_cmp_eq_u64_e32 vcc_lo, 0, v[18:19]
	s_cbranch_vccnz .LBB11_255
; %bb.254:                              ;   in Loop: Header=BB11_2 Depth=1
	global_load_dword v0, v[16:17], off offset:24
	s_waitcnt vmcnt(0)
	v_readfirstlane_b32 s12, v0
	s_waitcnt_vscnt null, 0x0
	global_store_dwordx2 v[18:19], v[0:1], off
	s_and_b32 m0, s12, 0x7fffff
	s_sendmsg sendmsg(MSG_INTERRUPT)
.LBB11_255:                             ;   in Loop: Header=BB11_2 Depth=1
	s_or_b32 exec_lo, exec_lo, s1
	v_add_co_u32 v16, vcc_lo, v22, v41
	v_add_co_ci_u32_e64 v17, null, 0, v23, vcc_lo
	s_branch .LBB11_259
	.p2align	6
.LBB11_256:                             ;   in Loop: Header=BB11_259 Depth=2
	s_or_b32 exec_lo, exec_lo, s1
	v_readfirstlane_b32 s1, v0
	s_cmp_eq_u32 s1, 0
	s_cbranch_scc1 .LBB11_258
; %bb.257:                              ;   in Loop: Header=BB11_259 Depth=2
	s_sleep 1
	s_cbranch_execnz .LBB11_259
	s_branch .LBB11_261
	.p2align	6
.LBB11_258:                             ;   in Loop: Header=BB11_2 Depth=1
	s_branch .LBB11_261
.LBB11_259:                             ;   Parent Loop BB11_2 Depth=1
                                        ; =>  This Inner Loop Header: Depth=2
	v_mov_b32_e32 v0, 1
	s_and_saveexec_b32 s1, s0
	s_cbranch_execz .LBB11_256
; %bb.260:                              ;   in Loop: Header=BB11_259 Depth=2
	global_load_dword v0, v[24:25], off offset:20 glc dlc
	s_waitcnt vmcnt(0)
	buffer_gl1_inv
	buffer_gl0_inv
	v_and_b32_e32 v0, 1, v0
	s_branch .LBB11_256
.LBB11_261:                             ;   in Loop: Header=BB11_2 Depth=1
	global_load_dwordx2 v[16:17], v[16:17], off
	s_and_saveexec_b32 s12, s0
	s_cbranch_execz .LBB11_265
; %bb.262:                              ;   in Loop: Header=BB11_2 Depth=1
	s_clause 0x2
	global_load_dwordx2 v[18:19], v1, s[4:5] offset:40
	global_load_dwordx2 v[26:27], v1, s[4:5] offset:24 glc dlc
	global_load_dwordx2 v[20:21], v1, s[4:5]
	s_waitcnt vmcnt(2)
	v_readfirstlane_b32 s14, v18
	v_readfirstlane_b32 s15, v19
	s_add_u32 s13, s14, 1
	s_addc_u32 s16, s15, 0
	s_add_u32 s0, s13, s6
	s_addc_u32 s1, s16, s7
	s_cmp_eq_u64 s[0:1], 0
	s_cselect_b32 s1, s16, s1
	s_cselect_b32 s0, s13, s0
	v_mov_b32_e32 v25, s1
	s_and_b64 s[6:7], s[0:1], s[14:15]
	v_mov_b32_e32 v24, s0
	s_mul_i32 s7, s7, 24
	s_mul_hi_u32 s13, s6, 24
	s_mul_i32 s6, s6, 24
	s_add_i32 s13, s13, s7
	s_waitcnt vmcnt(0)
	v_add_co_u32 v22, vcc_lo, v20, s6
	v_add_co_ci_u32_e64 v23, null, s13, v21, vcc_lo
	global_store_dwordx2 v[22:23], v[26:27], off
	s_waitcnt_vscnt null, 0x0
	global_atomic_cmpswap_x2 v[20:21], v1, v[24:27], s[4:5] offset:24 glc
	s_waitcnt vmcnt(0)
	v_cmp_ne_u64_e32 vcc_lo, v[20:21], v[26:27]
	s_and_b32 exec_lo, exec_lo, vcc_lo
	s_cbranch_execz .LBB11_265
; %bb.263:                              ;   in Loop: Header=BB11_2 Depth=1
	s_mov_b32 s6, 0
.LBB11_264:                             ;   Parent Loop BB11_2 Depth=1
                                        ; =>  This Inner Loop Header: Depth=2
	v_mov_b32_e32 v18, s0
	v_mov_b32_e32 v19, s1
	s_sleep 1
	global_store_dwordx2 v[22:23], v[20:21], off
	s_waitcnt_vscnt null, 0x0
	global_atomic_cmpswap_x2 v[18:19], v1, v[18:21], s[4:5] offset:24 glc
	s_waitcnt vmcnt(0)
	v_cmp_eq_u64_e32 vcc_lo, v[18:19], v[20:21]
	v_mov_b32_e32 v21, v19
	v_mov_b32_e32 v20, v18
	s_or_b32 s6, vcc_lo, s6
	s_andn2_b32 exec_lo, exec_lo, s6
	s_cbranch_execnz .LBB11_264
.LBB11_265:                             ;   in Loop: Header=BB11_2 Depth=1
	s_or_b32 exec_lo, exec_lo, s12
	v_readfirstlane_b32 s0, v40
	v_mov_b32_e32 v18, 0
	v_mov_b32_e32 v19, 0
	v_cmp_eq_u32_e64 s0, s0, v40
	s_and_saveexec_b32 s1, s0
	s_cbranch_execz .LBB11_271
; %bb.266:                              ;   in Loop: Header=BB11_2 Depth=1
	global_load_dwordx2 v[20:21], v1, s[4:5] offset:24 glc dlc
	s_waitcnt vmcnt(0)
	buffer_gl1_inv
	buffer_gl0_inv
	s_clause 0x1
	global_load_dwordx2 v[18:19], v1, s[4:5] offset:40
	global_load_dwordx2 v[22:23], v1, s[4:5]
	s_mov_b32 s6, exec_lo
	s_waitcnt vmcnt(1)
	v_and_b32_e32 v0, v19, v21
	v_and_b32_e32 v12, v18, v20
	v_mul_lo_u32 v0, v0, 24
	v_mul_hi_u32 v18, v12, 24
	v_mul_lo_u32 v12, v12, 24
	v_add_nc_u32_e32 v0, v18, v0
	s_waitcnt vmcnt(0)
	v_add_co_u32 v18, vcc_lo, v22, v12
	v_add_co_ci_u32_e64 v19, null, v23, v0, vcc_lo
	global_load_dwordx2 v[18:19], v[18:19], off glc dlc
	s_waitcnt vmcnt(0)
	global_atomic_cmpswap_x2 v[18:19], v1, v[18:21], s[4:5] offset:24 glc
	s_waitcnt vmcnt(0)
	buffer_gl1_inv
	buffer_gl0_inv
	v_cmpx_ne_u64_e64 v[18:19], v[20:21]
	s_cbranch_execz .LBB11_270
; %bb.267:                              ;   in Loop: Header=BB11_2 Depth=1
	s_mov_b32 s7, 0
	.p2align	6
.LBB11_268:                             ;   Parent Loop BB11_2 Depth=1
                                        ; =>  This Inner Loop Header: Depth=2
	s_sleep 1
	s_clause 0x1
	global_load_dwordx2 v[22:23], v1, s[4:5] offset:40
	global_load_dwordx2 v[24:25], v1, s[4:5]
	v_mov_b32_e32 v21, v19
	v_mov_b32_e32 v20, v18
	s_waitcnt vmcnt(1)
	v_and_b32_e32 v0, v22, v20
	v_and_b32_e32 v12, v23, v21
	s_waitcnt vmcnt(0)
	v_mad_u64_u32 v[18:19], null, v0, 24, v[24:25]
	v_mov_b32_e32 v0, v19
	v_mad_u64_u32 v[22:23], null, v12, 24, v[0:1]
	v_mov_b32_e32 v19, v22
	global_load_dwordx2 v[18:19], v[18:19], off glc dlc
	s_waitcnt vmcnt(0)
	global_atomic_cmpswap_x2 v[18:19], v1, v[18:21], s[4:5] offset:24 glc
	s_waitcnt vmcnt(0)
	buffer_gl1_inv
	buffer_gl0_inv
	v_cmp_eq_u64_e32 vcc_lo, v[18:19], v[20:21]
	s_or_b32 s7, vcc_lo, s7
	s_andn2_b32 exec_lo, exec_lo, s7
	s_cbranch_execnz .LBB11_268
; %bb.269:                              ;   in Loop: Header=BB11_2 Depth=1
	s_or_b32 exec_lo, exec_lo, s7
.LBB11_270:                             ;   in Loop: Header=BB11_2 Depth=1
	s_or_b32 exec_lo, exec_lo, s6
.LBB11_271:                             ;   in Loop: Header=BB11_2 Depth=1
	s_or_b32 exec_lo, exec_lo, s1
	s_clause 0x1
	global_load_dwordx2 v[24:25], v1, s[4:5] offset:40
	global_load_dwordx4 v[20:23], v1, s[4:5]
	v_readfirstlane_b32 s7, v19
	v_readfirstlane_b32 s6, v18
	s_mov_b32 s1, exec_lo
	s_waitcnt vmcnt(1)
	v_readfirstlane_b32 s12, v24
	v_readfirstlane_b32 s13, v25
	s_and_b64 s[12:13], s[12:13], s[6:7]
	s_mul_i32 s14, s13, 24
	s_mul_hi_u32 s15, s12, 24
	s_mul_i32 s16, s12, 24
	s_add_i32 s15, s15, s14
	s_waitcnt vmcnt(0)
	v_add_co_u32 v24, vcc_lo, v20, s16
	v_add_co_ci_u32_e64 v25, null, s15, v21, vcc_lo
	s_and_saveexec_b32 s14, s0
	s_cbranch_execz .LBB11_273
; %bb.272:                              ;   in Loop: Header=BB11_2 Depth=1
	v_mov_b32_e32 v0, s1
	global_store_dwordx4 v[24:25], v[0:3], off offset:8
.LBB11_273:                             ;   in Loop: Header=BB11_2 Depth=1
	s_or_b32 exec_lo, exec_lo, s14
	s_lshl_b64 s[12:13], s[12:13], 12
	v_and_or_b32 v16, 0xffffff1f, v16, 32
	v_add_co_u32 v22, vcc_lo, v22, s12
	v_add_co_ci_u32_e64 v23, null, s13, v23, vcc_lo
	v_mov_b32_e32 v18, v13
	v_mov_b32_e32 v19, v1
	v_readfirstlane_b32 s12, v22
	v_readfirstlane_b32 s13, v23
	v_mov_b32_e32 v29, s11
	v_mov_b32_e32 v28, s10
	;; [unrolled: 1-line block ×4, first 2 shown]
	global_store_dwordx4 v41, v[16:19], s[12:13]
	global_store_dwordx4 v41, v[26:29], s[12:13] offset:16
	global_store_dwordx4 v41, v[26:29], s[12:13] offset:32
	;; [unrolled: 1-line block ×3, first 2 shown]
	s_and_saveexec_b32 s1, s0
	s_cbranch_execz .LBB11_281
; %bb.274:                              ;   in Loop: Header=BB11_2 Depth=1
	s_clause 0x1
	global_load_dwordx2 v[28:29], v1, s[4:5] offset:32 glc dlc
	global_load_dwordx2 v[12:13], v1, s[4:5] offset:40
	v_mov_b32_e32 v26, s6
	v_mov_b32_e32 v27, s7
	s_waitcnt vmcnt(0)
	v_readfirstlane_b32 s12, v12
	v_readfirstlane_b32 s13, v13
	s_and_b64 s[12:13], s[12:13], s[6:7]
	s_mul_i32 s13, s13, 24
	s_mul_hi_u32 s14, s12, 24
	s_mul_i32 s12, s12, 24
	s_add_i32 s14, s14, s13
	v_add_co_u32 v12, vcc_lo, v20, s12
	v_add_co_ci_u32_e64 v13, null, s14, v21, vcc_lo
	s_mov_b32 s12, exec_lo
	global_store_dwordx2 v[12:13], v[28:29], off
	s_waitcnt_vscnt null, 0x0
	global_atomic_cmpswap_x2 v[18:19], v1, v[26:29], s[4:5] offset:32 glc
	s_waitcnt vmcnt(0)
	v_cmpx_ne_u64_e64 v[18:19], v[28:29]
	s_cbranch_execz .LBB11_277
; %bb.275:                              ;   in Loop: Header=BB11_2 Depth=1
	s_mov_b32 s13, 0
.LBB11_276:                             ;   Parent Loop BB11_2 Depth=1
                                        ; =>  This Inner Loop Header: Depth=2
	v_mov_b32_e32 v16, s6
	v_mov_b32_e32 v17, s7
	s_sleep 1
	global_store_dwordx2 v[12:13], v[18:19], off
	s_waitcnt_vscnt null, 0x0
	global_atomic_cmpswap_x2 v[16:17], v1, v[16:19], s[4:5] offset:32 glc
	s_waitcnt vmcnt(0)
	v_cmp_eq_u64_e32 vcc_lo, v[16:17], v[18:19]
	v_mov_b32_e32 v19, v17
	v_mov_b32_e32 v18, v16
	s_or_b32 s13, vcc_lo, s13
	s_andn2_b32 exec_lo, exec_lo, s13
	s_cbranch_execnz .LBB11_276
.LBB11_277:                             ;   in Loop: Header=BB11_2 Depth=1
	s_or_b32 exec_lo, exec_lo, s12
	global_load_dwordx2 v[12:13], v1, s[4:5] offset:16
	s_mov_b32 s13, exec_lo
	s_mov_b32 s12, exec_lo
	v_mbcnt_lo_u32_b32 v0, s13, 0
	v_cmpx_eq_u32_e32 0, v0
	s_cbranch_execz .LBB11_279
; %bb.278:                              ;   in Loop: Header=BB11_2 Depth=1
	s_bcnt1_i32_b32 s13, s13
	v_mov_b32_e32 v0, s13
	s_waitcnt vmcnt(0)
	global_atomic_add_x2 v[12:13], v[0:1], off offset:8
.LBB11_279:                             ;   in Loop: Header=BB11_2 Depth=1
	s_or_b32 exec_lo, exec_lo, s12
	s_waitcnt vmcnt(0)
	global_load_dwordx2 v[16:17], v[12:13], off offset:16
	s_waitcnt vmcnt(0)
	v_cmp_eq_u64_e32 vcc_lo, 0, v[16:17]
	s_cbranch_vccnz .LBB11_281
; %bb.280:                              ;   in Loop: Header=BB11_2 Depth=1
	global_load_dword v0, v[12:13], off offset:24
	s_waitcnt vmcnt(0)
	v_readfirstlane_b32 s12, v0
	s_waitcnt_vscnt null, 0x0
	global_store_dwordx2 v[16:17], v[0:1], off
	s_and_b32 m0, s12, 0x7fffff
	s_sendmsg sendmsg(MSG_INTERRUPT)
.LBB11_281:                             ;   in Loop: Header=BB11_2 Depth=1
	s_or_b32 exec_lo, exec_lo, s1
	v_add_co_u32 v12, vcc_lo, v22, v41
	v_add_co_ci_u32_e64 v13, null, 0, v23, vcc_lo
	s_branch .LBB11_285
	.p2align	6
.LBB11_282:                             ;   in Loop: Header=BB11_285 Depth=2
	s_or_b32 exec_lo, exec_lo, s1
	v_readfirstlane_b32 s1, v0
	s_cmp_eq_u32 s1, 0
	s_cbranch_scc1 .LBB11_284
; %bb.283:                              ;   in Loop: Header=BB11_285 Depth=2
	s_sleep 1
	s_cbranch_execnz .LBB11_285
	s_branch .LBB11_287
	.p2align	6
.LBB11_284:                             ;   in Loop: Header=BB11_2 Depth=1
	s_branch .LBB11_287
.LBB11_285:                             ;   Parent Loop BB11_2 Depth=1
                                        ; =>  This Inner Loop Header: Depth=2
	v_mov_b32_e32 v0, 1
	s_and_saveexec_b32 s1, s0
	s_cbranch_execz .LBB11_282
; %bb.286:                              ;   in Loop: Header=BB11_285 Depth=2
	global_load_dword v0, v[24:25], off offset:20 glc dlc
	s_waitcnt vmcnt(0)
	buffer_gl1_inv
	buffer_gl0_inv
	v_and_b32_e32 v0, 1, v0
	s_branch .LBB11_282
.LBB11_287:                             ;   in Loop: Header=BB11_2 Depth=1
	global_load_dwordx2 v[16:17], v[12:13], off
	s_and_saveexec_b32 s12, s0
	s_cbranch_execz .LBB11_291
; %bb.288:                              ;   in Loop: Header=BB11_2 Depth=1
	s_clause 0x2
	global_load_dwordx2 v[12:13], v1, s[4:5] offset:40
	global_load_dwordx2 v[22:23], v1, s[4:5] offset:24 glc dlc
	global_load_dwordx2 v[18:19], v1, s[4:5]
	s_waitcnt vmcnt(2)
	v_readfirstlane_b32 s14, v12
	v_readfirstlane_b32 s15, v13
	s_add_u32 s13, s14, 1
	s_addc_u32 s16, s15, 0
	s_add_u32 s0, s13, s6
	s_addc_u32 s1, s16, s7
	s_cmp_eq_u64 s[0:1], 0
	s_cselect_b32 s1, s16, s1
	s_cselect_b32 s0, s13, s0
	v_mov_b32_e32 v21, s1
	s_and_b64 s[6:7], s[0:1], s[14:15]
	v_mov_b32_e32 v20, s0
	s_mul_i32 s7, s7, 24
	s_mul_hi_u32 s13, s6, 24
	s_mul_i32 s6, s6, 24
	s_add_i32 s13, s13, s7
	s_waitcnt vmcnt(0)
	v_add_co_u32 v12, vcc_lo, v18, s6
	v_add_co_ci_u32_e64 v13, null, s13, v19, vcc_lo
	global_store_dwordx2 v[12:13], v[22:23], off
	s_waitcnt_vscnt null, 0x0
	global_atomic_cmpswap_x2 v[20:21], v1, v[20:23], s[4:5] offset:24 glc
	s_waitcnt vmcnt(0)
	v_cmp_ne_u64_e32 vcc_lo, v[20:21], v[22:23]
	s_and_b32 exec_lo, exec_lo, vcc_lo
	s_cbranch_execz .LBB11_291
; %bb.289:                              ;   in Loop: Header=BB11_2 Depth=1
	s_mov_b32 s6, 0
.LBB11_290:                             ;   Parent Loop BB11_2 Depth=1
                                        ; =>  This Inner Loop Header: Depth=2
	v_mov_b32_e32 v18, s0
	v_mov_b32_e32 v19, s1
	s_sleep 1
	global_store_dwordx2 v[12:13], v[20:21], off
	s_waitcnt_vscnt null, 0x0
	global_atomic_cmpswap_x2 v[18:19], v1, v[18:21], s[4:5] offset:24 glc
	s_waitcnt vmcnt(0)
	v_cmp_eq_u64_e32 vcc_lo, v[18:19], v[20:21]
	v_mov_b32_e32 v21, v19
	v_mov_b32_e32 v20, v18
	s_or_b32 s6, vcc_lo, s6
	s_andn2_b32 exec_lo, exec_lo, s6
	s_cbranch_execnz .LBB11_290
.LBB11_291:                             ;   in Loop: Header=BB11_2 Depth=1
	s_or_b32 exec_lo, exec_lo, s12
	v_readfirstlane_b32 s0, v40
	v_mov_b32_e32 v12, 0
	v_mov_b32_e32 v13, 0
	v_cmp_eq_u32_e64 s0, s0, v40
	s_and_saveexec_b32 s1, s0
	s_cbranch_execz .LBB11_297
; %bb.292:                              ;   in Loop: Header=BB11_2 Depth=1
	global_load_dwordx2 v[20:21], v1, s[4:5] offset:24 glc dlc
	s_waitcnt vmcnt(0)
	buffer_gl1_inv
	buffer_gl0_inv
	s_clause 0x1
	global_load_dwordx2 v[12:13], v1, s[4:5] offset:40
	global_load_dwordx2 v[18:19], v1, s[4:5]
	s_mov_b32 s6, exec_lo
	s_waitcnt vmcnt(1)
	v_and_b32_e32 v0, v13, v21
	v_and_b32_e32 v12, v12, v20
	v_mul_lo_u32 v0, v0, 24
	v_mul_hi_u32 v13, v12, 24
	v_mul_lo_u32 v12, v12, 24
	v_add_nc_u32_e32 v0, v13, v0
	s_waitcnt vmcnt(0)
	v_add_co_u32 v12, vcc_lo, v18, v12
	v_add_co_ci_u32_e64 v13, null, v19, v0, vcc_lo
	global_load_dwordx2 v[18:19], v[12:13], off glc dlc
	s_waitcnt vmcnt(0)
	global_atomic_cmpswap_x2 v[12:13], v1, v[18:21], s[4:5] offset:24 glc
	s_waitcnt vmcnt(0)
	buffer_gl1_inv
	buffer_gl0_inv
	v_cmpx_ne_u64_e64 v[12:13], v[20:21]
	s_cbranch_execz .LBB11_296
; %bb.293:                              ;   in Loop: Header=BB11_2 Depth=1
	s_mov_b32 s7, 0
	.p2align	6
.LBB11_294:                             ;   Parent Loop BB11_2 Depth=1
                                        ; =>  This Inner Loop Header: Depth=2
	s_sleep 1
	s_clause 0x1
	global_load_dwordx2 v[18:19], v1, s[4:5] offset:40
	global_load_dwordx2 v[22:23], v1, s[4:5]
	v_mov_b32_e32 v21, v13
	v_mov_b32_e32 v20, v12
	s_waitcnt vmcnt(1)
	v_and_b32_e32 v0, v18, v20
	v_and_b32_e32 v18, v19, v21
	s_waitcnt vmcnt(0)
	v_mad_u64_u32 v[12:13], null, v0, 24, v[22:23]
	v_mov_b32_e32 v0, v13
	v_mad_u64_u32 v[18:19], null, v18, 24, v[0:1]
	v_mov_b32_e32 v13, v18
	global_load_dwordx2 v[18:19], v[12:13], off glc dlc
	s_waitcnt vmcnt(0)
	global_atomic_cmpswap_x2 v[12:13], v1, v[18:21], s[4:5] offset:24 glc
	s_waitcnt vmcnt(0)
	buffer_gl1_inv
	buffer_gl0_inv
	v_cmp_eq_u64_e32 vcc_lo, v[12:13], v[20:21]
	s_or_b32 s7, vcc_lo, s7
	s_andn2_b32 exec_lo, exec_lo, s7
	s_cbranch_execnz .LBB11_294
; %bb.295:                              ;   in Loop: Header=BB11_2 Depth=1
	s_or_b32 exec_lo, exec_lo, s7
.LBB11_296:                             ;   in Loop: Header=BB11_2 Depth=1
	s_or_b32 exec_lo, exec_lo, s6
.LBB11_297:                             ;   in Loop: Header=BB11_2 Depth=1
	s_or_b32 exec_lo, exec_lo, s1
	s_clause 0x1
	global_load_dwordx2 v[18:19], v1, s[4:5] offset:40
	global_load_dwordx4 v[20:23], v1, s[4:5]
	v_readfirstlane_b32 s7, v13
	v_readfirstlane_b32 s6, v12
	s_mov_b32 s1, exec_lo
	s_waitcnt vmcnt(1)
	v_readfirstlane_b32 s12, v18
	v_readfirstlane_b32 s13, v19
	s_and_b64 s[12:13], s[12:13], s[6:7]
	s_mul_i32 s14, s13, 24
	s_mul_hi_u32 s15, s12, 24
	s_mul_i32 s16, s12, 24
	s_add_i32 s15, s15, s14
	s_waitcnt vmcnt(0)
	v_add_co_u32 v12, vcc_lo, v20, s16
	v_add_co_ci_u32_e64 v13, null, s15, v21, vcc_lo
	s_and_saveexec_b32 s14, s0
	s_cbranch_execz .LBB11_299
; %bb.298:                              ;   in Loop: Header=BB11_2 Depth=1
	v_mov_b32_e32 v0, s1
	global_store_dwordx4 v[12:13], v[0:3], off offset:8
.LBB11_299:                             ;   in Loop: Header=BB11_2 Depth=1
	s_or_b32 exec_lo, exec_lo, s14
	s_lshl_b64 s[12:13], s[12:13], 12
	v_and_or_b32 v16, 0xffffff1f, v16, 32
	v_add_co_u32 v22, vcc_lo, v22, s12
	v_add_co_ci_u32_e64 v23, null, s13, v23, vcc_lo
	v_mov_b32_e32 v18, v14
	v_mov_b32_e32 v19, v1
	v_readfirstlane_b32 s12, v22
	v_readfirstlane_b32 s13, v23
	v_mov_b32_e32 v27, s11
	v_mov_b32_e32 v26, s10
	;; [unrolled: 1-line block ×4, first 2 shown]
	global_store_dwordx4 v41, v[16:19], s[12:13]
	global_store_dwordx4 v41, v[24:27], s[12:13] offset:16
	global_store_dwordx4 v41, v[24:27], s[12:13] offset:32
	;; [unrolled: 1-line block ×3, first 2 shown]
	s_and_saveexec_b32 s1, s0
	s_cbranch_execz .LBB11_307
; %bb.300:                              ;   in Loop: Header=BB11_2 Depth=1
	s_clause 0x1
	global_load_dwordx2 v[26:27], v1, s[4:5] offset:32 glc dlc
	global_load_dwordx2 v[16:17], v1, s[4:5] offset:40
	v_mov_b32_e32 v24, s6
	v_mov_b32_e32 v25, s7
	s_waitcnt vmcnt(0)
	v_readfirstlane_b32 s12, v16
	v_readfirstlane_b32 s13, v17
	s_and_b64 s[12:13], s[12:13], s[6:7]
	s_mul_i32 s13, s13, 24
	s_mul_hi_u32 s14, s12, 24
	s_mul_i32 s12, s12, 24
	s_add_i32 s14, s14, s13
	v_add_co_u32 v20, vcc_lo, v20, s12
	v_add_co_ci_u32_e64 v21, null, s14, v21, vcc_lo
	s_mov_b32 s12, exec_lo
	global_store_dwordx2 v[20:21], v[26:27], off
	s_waitcnt_vscnt null, 0x0
	global_atomic_cmpswap_x2 v[18:19], v1, v[24:27], s[4:5] offset:32 glc
	s_waitcnt vmcnt(0)
	v_cmpx_ne_u64_e64 v[18:19], v[26:27]
	s_cbranch_execz .LBB11_303
; %bb.301:                              ;   in Loop: Header=BB11_2 Depth=1
	s_mov_b32 s13, 0
.LBB11_302:                             ;   Parent Loop BB11_2 Depth=1
                                        ; =>  This Inner Loop Header: Depth=2
	v_mov_b32_e32 v16, s6
	v_mov_b32_e32 v17, s7
	s_sleep 1
	global_store_dwordx2 v[20:21], v[18:19], off
	s_waitcnt_vscnt null, 0x0
	global_atomic_cmpswap_x2 v[16:17], v1, v[16:19], s[4:5] offset:32 glc
	s_waitcnt vmcnt(0)
	v_cmp_eq_u64_e32 vcc_lo, v[16:17], v[18:19]
	v_mov_b32_e32 v19, v17
	v_mov_b32_e32 v18, v16
	s_or_b32 s13, vcc_lo, s13
	s_andn2_b32 exec_lo, exec_lo, s13
	s_cbranch_execnz .LBB11_302
.LBB11_303:                             ;   in Loop: Header=BB11_2 Depth=1
	s_or_b32 exec_lo, exec_lo, s12
	global_load_dwordx2 v[16:17], v1, s[4:5] offset:16
	s_mov_b32 s13, exec_lo
	s_mov_b32 s12, exec_lo
	v_mbcnt_lo_u32_b32 v0, s13, 0
	v_cmpx_eq_u32_e32 0, v0
	s_cbranch_execz .LBB11_305
; %bb.304:                              ;   in Loop: Header=BB11_2 Depth=1
	s_bcnt1_i32_b32 s13, s13
	v_mov_b32_e32 v0, s13
	s_waitcnt vmcnt(0)
	global_atomic_add_x2 v[16:17], v[0:1], off offset:8
.LBB11_305:                             ;   in Loop: Header=BB11_2 Depth=1
	s_or_b32 exec_lo, exec_lo, s12
	s_waitcnt vmcnt(0)
	global_load_dwordx2 v[18:19], v[16:17], off offset:16
	s_waitcnt vmcnt(0)
	v_cmp_eq_u64_e32 vcc_lo, 0, v[18:19]
	s_cbranch_vccnz .LBB11_307
; %bb.306:                              ;   in Loop: Header=BB11_2 Depth=1
	global_load_dword v0, v[16:17], off offset:24
	s_waitcnt vmcnt(0)
	v_readfirstlane_b32 s12, v0
	s_waitcnt_vscnt null, 0x0
	global_store_dwordx2 v[18:19], v[0:1], off
	s_and_b32 m0, s12, 0x7fffff
	s_sendmsg sendmsg(MSG_INTERRUPT)
.LBB11_307:                             ;   in Loop: Header=BB11_2 Depth=1
	s_or_b32 exec_lo, exec_lo, s1
	v_add_co_u32 v16, vcc_lo, v22, v41
	v_add_co_ci_u32_e64 v17, null, 0, v23, vcc_lo
	s_branch .LBB11_311
	.p2align	6
.LBB11_308:                             ;   in Loop: Header=BB11_311 Depth=2
	s_or_b32 exec_lo, exec_lo, s1
	v_readfirstlane_b32 s1, v0
	s_cmp_eq_u32 s1, 0
	s_cbranch_scc1 .LBB11_310
; %bb.309:                              ;   in Loop: Header=BB11_311 Depth=2
	s_sleep 1
	s_cbranch_execnz .LBB11_311
	s_branch .LBB11_313
	.p2align	6
.LBB11_310:                             ;   in Loop: Header=BB11_2 Depth=1
	s_branch .LBB11_313
.LBB11_311:                             ;   Parent Loop BB11_2 Depth=1
                                        ; =>  This Inner Loop Header: Depth=2
	v_mov_b32_e32 v0, 1
	s_and_saveexec_b32 s1, s0
	s_cbranch_execz .LBB11_308
; %bb.312:                              ;   in Loop: Header=BB11_311 Depth=2
	global_load_dword v0, v[12:13], off offset:20 glc dlc
	s_waitcnt vmcnt(0)
	buffer_gl1_inv
	buffer_gl0_inv
	v_and_b32_e32 v0, 1, v0
	s_branch .LBB11_308
.LBB11_313:                             ;   in Loop: Header=BB11_2 Depth=1
	global_load_dwordx2 v[12:13], v[16:17], off
	s_and_saveexec_b32 s12, s0
	s_cbranch_execz .LBB11_317
; %bb.314:                              ;   in Loop: Header=BB11_2 Depth=1
	s_clause 0x2
	global_load_dwordx2 v[16:17], v1, s[4:5] offset:40
	global_load_dwordx2 v[24:25], v1, s[4:5] offset:24 glc dlc
	global_load_dwordx2 v[18:19], v1, s[4:5]
	s_waitcnt vmcnt(2)
	v_readfirstlane_b32 s14, v16
	v_readfirstlane_b32 s15, v17
	s_add_u32 s13, s14, 1
	s_addc_u32 s16, s15, 0
	s_add_u32 s0, s13, s6
	s_addc_u32 s1, s16, s7
	s_cmp_eq_u64 s[0:1], 0
	s_cselect_b32 s1, s16, s1
	s_cselect_b32 s0, s13, s0
	v_mov_b32_e32 v23, s1
	s_and_b64 s[6:7], s[0:1], s[14:15]
	v_mov_b32_e32 v22, s0
	s_mul_i32 s7, s7, 24
	s_mul_hi_u32 s13, s6, 24
	s_mul_i32 s6, s6, 24
	s_add_i32 s13, s13, s7
	s_waitcnt vmcnt(0)
	v_add_co_u32 v20, vcc_lo, v18, s6
	v_add_co_ci_u32_e64 v21, null, s13, v19, vcc_lo
	global_store_dwordx2 v[20:21], v[24:25], off
	s_waitcnt_vscnt null, 0x0
	global_atomic_cmpswap_x2 v[18:19], v1, v[22:25], s[4:5] offset:24 glc
	s_waitcnt vmcnt(0)
	v_cmp_ne_u64_e32 vcc_lo, v[18:19], v[24:25]
	s_and_b32 exec_lo, exec_lo, vcc_lo
	s_cbranch_execz .LBB11_317
; %bb.315:                              ;   in Loop: Header=BB11_2 Depth=1
	s_mov_b32 s6, 0
.LBB11_316:                             ;   Parent Loop BB11_2 Depth=1
                                        ; =>  This Inner Loop Header: Depth=2
	v_mov_b32_e32 v16, s0
	v_mov_b32_e32 v17, s1
	s_sleep 1
	global_store_dwordx2 v[20:21], v[18:19], off
	s_waitcnt_vscnt null, 0x0
	global_atomic_cmpswap_x2 v[16:17], v1, v[16:19], s[4:5] offset:24 glc
	s_waitcnt vmcnt(0)
	v_cmp_eq_u64_e32 vcc_lo, v[16:17], v[18:19]
	v_mov_b32_e32 v19, v17
	v_mov_b32_e32 v18, v16
	s_or_b32 s6, vcc_lo, s6
	s_andn2_b32 exec_lo, exec_lo, s6
	s_cbranch_execnz .LBB11_316
.LBB11_317:                             ;   in Loop: Header=BB11_2 Depth=1
	s_or_b32 exec_lo, exec_lo, s12
	v_readfirstlane_b32 s0, v40
	v_mov_b32_e32 v20, 0
	v_mov_b32_e32 v21, 0
	v_cmp_eq_u32_e64 s0, s0, v40
	s_and_saveexec_b32 s1, s0
	s_cbranch_execz .LBB11_323
; %bb.318:                              ;   in Loop: Header=BB11_2 Depth=1
	global_load_dwordx2 v[18:19], v1, s[4:5] offset:24 glc dlc
	s_waitcnt vmcnt(0)
	buffer_gl1_inv
	buffer_gl0_inv
	s_clause 0x1
	global_load_dwordx2 v[16:17], v1, s[4:5] offset:40
	global_load_dwordx2 v[20:21], v1, s[4:5]
	s_mov_b32 s6, exec_lo
	s_waitcnt vmcnt(1)
	v_and_b32_e32 v0, v17, v19
	v_and_b32_e32 v14, v16, v18
	v_mul_lo_u32 v0, v0, 24
	v_mul_hi_u32 v16, v14, 24
	v_mul_lo_u32 v14, v14, 24
	v_add_nc_u32_e32 v0, v16, v0
	s_waitcnt vmcnt(0)
	v_add_co_u32 v16, vcc_lo, v20, v14
	v_add_co_ci_u32_e64 v17, null, v21, v0, vcc_lo
	global_load_dwordx2 v[16:17], v[16:17], off glc dlc
	s_waitcnt vmcnt(0)
	global_atomic_cmpswap_x2 v[20:21], v1, v[16:19], s[4:5] offset:24 glc
	s_waitcnt vmcnt(0)
	buffer_gl1_inv
	buffer_gl0_inv
	v_cmpx_ne_u64_e64 v[20:21], v[18:19]
	s_cbranch_execz .LBB11_322
; %bb.319:                              ;   in Loop: Header=BB11_2 Depth=1
	s_mov_b32 s7, 0
	.p2align	6
.LBB11_320:                             ;   Parent Loop BB11_2 Depth=1
                                        ; =>  This Inner Loop Header: Depth=2
	s_sleep 1
	s_clause 0x1
	global_load_dwordx2 v[16:17], v1, s[4:5] offset:40
	global_load_dwordx2 v[22:23], v1, s[4:5]
	v_mov_b32_e32 v18, v20
	v_mov_b32_e32 v19, v21
	s_waitcnt vmcnt(1)
	v_and_b32_e32 v0, v16, v18
	v_and_b32_e32 v14, v17, v19
	s_waitcnt vmcnt(0)
	v_mad_u64_u32 v[20:21], null, v0, 24, v[22:23]
	v_mov_b32_e32 v0, v21
	v_mad_u64_u32 v[16:17], null, v14, 24, v[0:1]
	v_mov_b32_e32 v21, v16
	global_load_dwordx2 v[16:17], v[20:21], off glc dlc
	s_waitcnt vmcnt(0)
	global_atomic_cmpswap_x2 v[20:21], v1, v[16:19], s[4:5] offset:24 glc
	s_waitcnt vmcnt(0)
	buffer_gl1_inv
	buffer_gl0_inv
	v_cmp_eq_u64_e32 vcc_lo, v[20:21], v[18:19]
	s_or_b32 s7, vcc_lo, s7
	s_andn2_b32 exec_lo, exec_lo, s7
	s_cbranch_execnz .LBB11_320
; %bb.321:                              ;   in Loop: Header=BB11_2 Depth=1
	s_or_b32 exec_lo, exec_lo, s7
.LBB11_322:                             ;   in Loop: Header=BB11_2 Depth=1
	s_or_b32 exec_lo, exec_lo, s6
.LBB11_323:                             ;   in Loop: Header=BB11_2 Depth=1
	s_or_b32 exec_lo, exec_lo, s1
	s_clause 0x1
	global_load_dwordx2 v[22:23], v1, s[4:5] offset:40
	global_load_dwordx4 v[16:19], v1, s[4:5]
	v_readfirstlane_b32 s7, v21
	v_readfirstlane_b32 s6, v20
	s_mov_b32 s1, exec_lo
	s_waitcnt vmcnt(1)
	v_readfirstlane_b32 s12, v22
	v_readfirstlane_b32 s13, v23
	s_and_b64 s[12:13], s[12:13], s[6:7]
	s_mul_i32 s14, s13, 24
	s_mul_hi_u32 s15, s12, 24
	s_mul_i32 s16, s12, 24
	s_add_i32 s15, s15, s14
	s_waitcnt vmcnt(0)
	v_add_co_u32 v20, vcc_lo, v16, s16
	v_add_co_ci_u32_e64 v21, null, s15, v17, vcc_lo
	s_and_saveexec_b32 s14, s0
	s_cbranch_execz .LBB11_325
; %bb.324:                              ;   in Loop: Header=BB11_2 Depth=1
	v_mov_b32_e32 v0, s1
	global_store_dwordx4 v[20:21], v[0:3], off offset:8
.LBB11_325:                             ;   in Loop: Header=BB11_2 Depth=1
	s_or_b32 exec_lo, exec_lo, s14
	s_lshl_b64 s[12:13], s[12:13], 12
	v_and_or_b32 v12, 0xffffff1d, v12, 34
	v_add_co_u32 v0, vcc_lo, v18, s12
	v_add_co_ci_u32_e64 v18, null, s13, v19, vcc_lo
	v_mov_b32_e32 v14, v15
	v_mov_b32_e32 v15, v1
	v_readfirstlane_b32 s12, v0
	v_readfirstlane_b32 s13, v18
	v_mov_b32_e32 v25, s11
	v_mov_b32_e32 v24, s10
	;; [unrolled: 1-line block ×4, first 2 shown]
	global_store_dwordx4 v41, v[12:15], s[12:13]
	global_store_dwordx4 v41, v[22:25], s[12:13] offset:16
	global_store_dwordx4 v41, v[22:25], s[12:13] offset:32
	;; [unrolled: 1-line block ×3, first 2 shown]
	s_and_saveexec_b32 s1, s0
	s_cbranch_execz .LBB11_333
; %bb.326:                              ;   in Loop: Header=BB11_2 Depth=1
	s_clause 0x1
	global_load_dwordx2 v[24:25], v1, s[4:5] offset:32 glc dlc
	global_load_dwordx2 v[12:13], v1, s[4:5] offset:40
	v_mov_b32_e32 v22, s6
	v_mov_b32_e32 v23, s7
	s_waitcnt vmcnt(0)
	v_readfirstlane_b32 s12, v12
	v_readfirstlane_b32 s13, v13
	s_and_b64 s[12:13], s[12:13], s[6:7]
	s_mul_i32 s13, s13, 24
	s_mul_hi_u32 s14, s12, 24
	s_mul_i32 s12, s12, 24
	s_add_i32 s14, s14, s13
	v_add_co_u32 v16, vcc_lo, v16, s12
	v_add_co_ci_u32_e64 v17, null, s14, v17, vcc_lo
	s_mov_b32 s12, exec_lo
	global_store_dwordx2 v[16:17], v[24:25], off
	s_waitcnt_vscnt null, 0x0
	global_atomic_cmpswap_x2 v[14:15], v1, v[22:25], s[4:5] offset:32 glc
	s_waitcnt vmcnt(0)
	v_cmpx_ne_u64_e64 v[14:15], v[24:25]
	s_cbranch_execz .LBB11_329
; %bb.327:                              ;   in Loop: Header=BB11_2 Depth=1
	s_mov_b32 s13, 0
.LBB11_328:                             ;   Parent Loop BB11_2 Depth=1
                                        ; =>  This Inner Loop Header: Depth=2
	v_mov_b32_e32 v12, s6
	v_mov_b32_e32 v13, s7
	s_sleep 1
	global_store_dwordx2 v[16:17], v[14:15], off
	s_waitcnt_vscnt null, 0x0
	global_atomic_cmpswap_x2 v[12:13], v1, v[12:15], s[4:5] offset:32 glc
	s_waitcnt vmcnt(0)
	v_cmp_eq_u64_e32 vcc_lo, v[12:13], v[14:15]
	v_mov_b32_e32 v15, v13
	v_mov_b32_e32 v14, v12
	s_or_b32 s13, vcc_lo, s13
	s_andn2_b32 exec_lo, exec_lo, s13
	s_cbranch_execnz .LBB11_328
.LBB11_329:                             ;   in Loop: Header=BB11_2 Depth=1
	s_or_b32 exec_lo, exec_lo, s12
	global_load_dwordx2 v[12:13], v1, s[4:5] offset:16
	s_mov_b32 s13, exec_lo
	s_mov_b32 s12, exec_lo
	v_mbcnt_lo_u32_b32 v0, s13, 0
	v_cmpx_eq_u32_e32 0, v0
	s_cbranch_execz .LBB11_331
; %bb.330:                              ;   in Loop: Header=BB11_2 Depth=1
	s_bcnt1_i32_b32 s13, s13
	v_mov_b32_e32 v0, s13
	s_waitcnt vmcnt(0)
	global_atomic_add_x2 v[12:13], v[0:1], off offset:8
.LBB11_331:                             ;   in Loop: Header=BB11_2 Depth=1
	s_or_b32 exec_lo, exec_lo, s12
	s_waitcnt vmcnt(0)
	global_load_dwordx2 v[14:15], v[12:13], off offset:16
	s_waitcnt vmcnt(0)
	v_cmp_eq_u64_e32 vcc_lo, 0, v[14:15]
	s_cbranch_vccnz .LBB11_333
; %bb.332:                              ;   in Loop: Header=BB11_2 Depth=1
	global_load_dword v0, v[12:13], off offset:24
	s_waitcnt vmcnt(0)
	v_readfirstlane_b32 s12, v0
	s_waitcnt_vscnt null, 0x0
	global_store_dwordx2 v[14:15], v[0:1], off
	s_and_b32 m0, s12, 0x7fffff
	s_sendmsg sendmsg(MSG_INTERRUPT)
.LBB11_333:                             ;   in Loop: Header=BB11_2 Depth=1
	s_or_b32 exec_lo, exec_lo, s1
	s_branch .LBB11_337
	.p2align	6
.LBB11_334:                             ;   in Loop: Header=BB11_337 Depth=2
	s_or_b32 exec_lo, exec_lo, s1
	v_readfirstlane_b32 s1, v0
	s_cmp_eq_u32 s1, 0
	s_cbranch_scc1 .LBB11_336
; %bb.335:                              ;   in Loop: Header=BB11_337 Depth=2
	s_sleep 1
	s_cbranch_execnz .LBB11_337
	s_branch .LBB11_339
	.p2align	6
.LBB11_336:                             ;   in Loop: Header=BB11_2 Depth=1
	s_branch .LBB11_339
.LBB11_337:                             ;   Parent Loop BB11_2 Depth=1
                                        ; =>  This Inner Loop Header: Depth=2
	v_mov_b32_e32 v0, 1
	s_and_saveexec_b32 s1, s0
	s_cbranch_execz .LBB11_334
; %bb.338:                              ;   in Loop: Header=BB11_337 Depth=2
	global_load_dword v0, v[20:21], off offset:20 glc dlc
	s_waitcnt vmcnt(0)
	buffer_gl1_inv
	buffer_gl0_inv
	v_and_b32_e32 v0, 1, v0
	s_branch .LBB11_334
.LBB11_339:                             ;   in Loop: Header=BB11_2 Depth=1
	s_and_saveexec_b32 s12, s0
	s_cbranch_execz .LBB11_1
; %bb.340:                              ;   in Loop: Header=BB11_2 Depth=1
	s_clause 0x2
	global_load_dwordx2 v[12:13], v1, s[4:5] offset:40
	global_load_dwordx2 v[20:21], v1, s[4:5] offset:24 glc dlc
	global_load_dwordx2 v[14:15], v1, s[4:5]
	s_waitcnt vmcnt(2)
	v_readfirstlane_b32 s14, v12
	v_readfirstlane_b32 s15, v13
	s_add_u32 s13, s14, 1
	s_addc_u32 s16, s15, 0
	s_add_u32 s0, s13, s6
	s_addc_u32 s1, s16, s7
	s_cmp_eq_u64 s[0:1], 0
	s_cselect_b32 s1, s16, s1
	s_cselect_b32 s0, s13, s0
	v_mov_b32_e32 v19, s1
	s_and_b64 s[6:7], s[0:1], s[14:15]
	v_mov_b32_e32 v18, s0
	s_mul_i32 s7, s7, 24
	s_mul_hi_u32 s13, s6, 24
	s_mul_i32 s6, s6, 24
	s_add_i32 s13, s13, s7
	s_waitcnt vmcnt(0)
	v_add_co_u32 v16, vcc_lo, v14, s6
	v_add_co_ci_u32_e64 v17, null, s13, v15, vcc_lo
	global_store_dwordx2 v[16:17], v[20:21], off
	s_waitcnt_vscnt null, 0x0
	global_atomic_cmpswap_x2 v[14:15], v1, v[18:21], s[4:5] offset:24 glc
	s_waitcnt vmcnt(0)
	v_cmp_ne_u64_e32 vcc_lo, v[14:15], v[20:21]
	s_and_b32 exec_lo, exec_lo, vcc_lo
	s_cbranch_execz .LBB11_1
; %bb.341:                              ;   in Loop: Header=BB11_2 Depth=1
	s_mov_b32 s6, 0
.LBB11_342:                             ;   Parent Loop BB11_2 Depth=1
                                        ; =>  This Inner Loop Header: Depth=2
	v_mov_b32_e32 v12, s0
	v_mov_b32_e32 v13, s1
	s_sleep 1
	global_store_dwordx2 v[16:17], v[14:15], off
	s_waitcnt_vscnt null, 0x0
	global_atomic_cmpswap_x2 v[12:13], v1, v[12:15], s[4:5] offset:24 glc
	s_waitcnt vmcnt(0)
	v_cmp_eq_u64_e32 vcc_lo, v[12:13], v[14:15]
	v_mov_b32_e32 v15, v13
	v_mov_b32_e32 v14, v12
	s_or_b32 s6, vcc_lo, s6
	s_andn2_b32 exec_lo, exec_lo, s6
	s_cbranch_execnz .LBB11_342
	s_branch .LBB11_1
.LBB11_343:
	s_endpgm
	.section	.rodata,"a",@progbits
	.p2align	6, 0x0
	.amdhsa_kernel _Z9printCutsiPN2rw3CutE
		.amdhsa_group_segment_fixed_size 0
		.amdhsa_private_segment_fixed_size 0
		.amdhsa_kernarg_size 272
		.amdhsa_user_sgpr_count 6
		.amdhsa_user_sgpr_private_segment_buffer 1
		.amdhsa_user_sgpr_dispatch_ptr 0
		.amdhsa_user_sgpr_queue_ptr 0
		.amdhsa_user_sgpr_kernarg_segment_ptr 1
		.amdhsa_user_sgpr_dispatch_id 0
		.amdhsa_user_sgpr_flat_scratch_init 0
		.amdhsa_user_sgpr_private_segment_size 0
		.amdhsa_wavefront_size32 1
		.amdhsa_uses_dynamic_stack 0
		.amdhsa_system_sgpr_private_segment_wavefront_offset 0
		.amdhsa_system_sgpr_workgroup_id_x 1
		.amdhsa_system_sgpr_workgroup_id_y 0
		.amdhsa_system_sgpr_workgroup_id_z 0
		.amdhsa_system_sgpr_workgroup_info 0
		.amdhsa_system_vgpr_workitem_id 0
		.amdhsa_next_free_vgpr 47
		.amdhsa_next_free_sgpr 28
		.amdhsa_reserve_vcc 1
		.amdhsa_reserve_flat_scratch 0
		.amdhsa_float_round_mode_32 0
		.amdhsa_float_round_mode_16_64 0
		.amdhsa_float_denorm_mode_32 3
		.amdhsa_float_denorm_mode_16_64 3
		.amdhsa_dx10_clamp 1
		.amdhsa_ieee_mode 1
		.amdhsa_fp16_overflow 0
		.amdhsa_workgroup_processor_mode 1
		.amdhsa_memory_ordered 1
		.amdhsa_forward_progress 1
		.amdhsa_shared_vgpr_count 0
		.amdhsa_exception_fp_ieee_invalid_op 0
		.amdhsa_exception_fp_denorm_src 0
		.amdhsa_exception_fp_ieee_div_zero 0
		.amdhsa_exception_fp_ieee_overflow 0
		.amdhsa_exception_fp_ieee_underflow 0
		.amdhsa_exception_fp_ieee_inexact 0
		.amdhsa_exception_int_div_zero 0
	.end_amdhsa_kernel
	.text
.Lfunc_end11:
	.size	_Z9printCutsiPN2rw3CutE, .Lfunc_end11-_Z9printCutsiPN2rw3CutE
                                        ; -- End function
	.set _Z9printCutsiPN2rw3CutE.num_vgpr, 47
	.set _Z9printCutsiPN2rw3CutE.num_agpr, 0
	.set _Z9printCutsiPN2rw3CutE.numbered_sgpr, 28
	.set _Z9printCutsiPN2rw3CutE.num_named_barrier, 0
	.set _Z9printCutsiPN2rw3CutE.private_seg_size, 0
	.set _Z9printCutsiPN2rw3CutE.uses_vcc, 1
	.set _Z9printCutsiPN2rw3CutE.uses_flat_scratch, 0
	.set _Z9printCutsiPN2rw3CutE.has_dyn_sized_stack, 0
	.set _Z9printCutsiPN2rw3CutE.has_recursion, 0
	.set _Z9printCutsiPN2rw3CutE.has_indirect_call, 0
	.section	.AMDGPU.csdata,"",@progbits
; Kernel info:
; codeLenInByte = 15388
; TotalNumSgprs: 30
; NumVgprs: 47
; ScratchSize: 0
; MemoryBound: 0
; FloatMode: 240
; IeeeMode: 1
; LDSByteSize: 0 bytes/workgroup (compile time only)
; SGPRBlocks: 0
; VGPRBlocks: 5
; NumSGPRsForWavesPerEU: 30
; NumVGPRsForWavesPerEU: 47
; Occupancy: 16
; WaveLimiterHint : 1
; COMPUTE_PGM_RSRC2:SCRATCH_EN: 0
; COMPUTE_PGM_RSRC2:USER_SGPR: 6
; COMPUTE_PGM_RSRC2:TRAP_HANDLER: 0
; COMPUTE_PGM_RSRC2:TGID_X_EN: 1
; COMPUTE_PGM_RSRC2:TGID_Y_EN: 0
; COMPUTE_PGM_RSRC2:TGID_Z_EN: 0
; COMPUTE_PGM_RSRC2:TIDIG_COMP_CNT: 0
	.text
	.protected	_Z7ConvertPiS_i         ; -- Begin function _Z7ConvertPiS_i
	.globl	_Z7ConvertPiS_i
	.p2align	8
	.type	_Z7ConvertPiS_i,@function
_Z7ConvertPiS_i:                        ; @_Z7ConvertPiS_i
; %bb.0:
	s_clause 0x1
	s_load_dword s0, s[4:5], 0x24
	s_load_dword s1, s[4:5], 0x10
	s_waitcnt lgkmcnt(0)
	s_and_b32 s0, s0, 0xffff
	v_mad_u64_u32 v[0:1], null, s6, s0, v[0:1]
	s_mov_b32 s0, exec_lo
	v_cmpx_gt_i32_e64 s1, v0
	s_cbranch_execz .LBB12_2
; %bb.1:
	s_load_dwordx4 s[0:3], s[4:5], 0x0
	v_ashrrev_i32_e32 v1, 31, v0
	v_lshlrev_b64 v[0:1], 2, v[0:1]
	s_waitcnt lgkmcnt(0)
	v_add_co_u32 v2, vcc_lo, s0, v0
	v_add_co_ci_u32_e64 v3, null, s1, v1, vcc_lo
	v_add_co_u32 v0, vcc_lo, s2, v0
	v_add_co_ci_u32_e64 v1, null, s3, v1, vcc_lo
	global_load_dword v4, v[2:3], off
	s_waitcnt vmcnt(0)
	v_and_b32_e32 v4, 1, v4
	global_store_dword v[0:1], v4, off
	global_load_dword v0, v[2:3], off
	s_waitcnt vmcnt(0)
	v_ashrrev_i32_e32 v0, 1, v0
	global_store_dword v[2:3], v0, off
.LBB12_2:
	s_endpgm
	.section	.rodata,"a",@progbits
	.p2align	6, 0x0
	.amdhsa_kernel _Z7ConvertPiS_i
		.amdhsa_group_segment_fixed_size 0
		.amdhsa_private_segment_fixed_size 0
		.amdhsa_kernarg_size 280
		.amdhsa_user_sgpr_count 6
		.amdhsa_user_sgpr_private_segment_buffer 1
		.amdhsa_user_sgpr_dispatch_ptr 0
		.amdhsa_user_sgpr_queue_ptr 0
		.amdhsa_user_sgpr_kernarg_segment_ptr 1
		.amdhsa_user_sgpr_dispatch_id 0
		.amdhsa_user_sgpr_flat_scratch_init 0
		.amdhsa_user_sgpr_private_segment_size 0
		.amdhsa_wavefront_size32 1
		.amdhsa_uses_dynamic_stack 0
		.amdhsa_system_sgpr_private_segment_wavefront_offset 0
		.amdhsa_system_sgpr_workgroup_id_x 1
		.amdhsa_system_sgpr_workgroup_id_y 0
		.amdhsa_system_sgpr_workgroup_id_z 0
		.amdhsa_system_sgpr_workgroup_info 0
		.amdhsa_system_vgpr_workitem_id 0
		.amdhsa_next_free_vgpr 5
		.amdhsa_next_free_sgpr 7
		.amdhsa_reserve_vcc 1
		.amdhsa_reserve_flat_scratch 0
		.amdhsa_float_round_mode_32 0
		.amdhsa_float_round_mode_16_64 0
		.amdhsa_float_denorm_mode_32 3
		.amdhsa_float_denorm_mode_16_64 3
		.amdhsa_dx10_clamp 1
		.amdhsa_ieee_mode 1
		.amdhsa_fp16_overflow 0
		.amdhsa_workgroup_processor_mode 1
		.amdhsa_memory_ordered 1
		.amdhsa_forward_progress 1
		.amdhsa_shared_vgpr_count 0
		.amdhsa_exception_fp_ieee_invalid_op 0
		.amdhsa_exception_fp_denorm_src 0
		.amdhsa_exception_fp_ieee_div_zero 0
		.amdhsa_exception_fp_ieee_overflow 0
		.amdhsa_exception_fp_ieee_underflow 0
		.amdhsa_exception_fp_ieee_inexact 0
		.amdhsa_exception_int_div_zero 0
	.end_amdhsa_kernel
	.text
.Lfunc_end12:
	.size	_Z7ConvertPiS_i, .Lfunc_end12-_Z7ConvertPiS_i
                                        ; -- End function
	.set _Z7ConvertPiS_i.num_vgpr, 5
	.set _Z7ConvertPiS_i.num_agpr, 0
	.set _Z7ConvertPiS_i.numbered_sgpr, 7
	.set _Z7ConvertPiS_i.num_named_barrier, 0
	.set _Z7ConvertPiS_i.private_seg_size, 0
	.set _Z7ConvertPiS_i.uses_vcc, 1
	.set _Z7ConvertPiS_i.uses_flat_scratch, 0
	.set _Z7ConvertPiS_i.has_dyn_sized_stack, 0
	.set _Z7ConvertPiS_i.has_recursion, 0
	.set _Z7ConvertPiS_i.has_indirect_call, 0
	.section	.AMDGPU.csdata,"",@progbits
; Kernel info:
; codeLenInByte = 164
; TotalNumSgprs: 9
; NumVgprs: 5
; ScratchSize: 0
; MemoryBound: 0
; FloatMode: 240
; IeeeMode: 1
; LDSByteSize: 0 bytes/workgroup (compile time only)
; SGPRBlocks: 0
; VGPRBlocks: 0
; NumSGPRsForWavesPerEU: 9
; NumVGPRsForWavesPerEU: 5
; Occupancy: 16
; WaveLimiterHint : 0
; COMPUTE_PGM_RSRC2:SCRATCH_EN: 0
; COMPUTE_PGM_RSRC2:USER_SGPR: 6
; COMPUTE_PGM_RSRC2:TRAP_HANDLER: 0
; COMPUTE_PGM_RSRC2:TGID_X_EN: 1
; COMPUTE_PGM_RSRC2:TGID_Y_EN: 0
; COMPUTE_PGM_RSRC2:TGID_Z_EN: 0
; COMPUTE_PGM_RSRC2:TIDIG_COMP_CNT: 0
	.text
	.protected	_Z6RevertPiS_i          ; -- Begin function _Z6RevertPiS_i
	.globl	_Z6RevertPiS_i
	.p2align	8
	.type	_Z6RevertPiS_i,@function
_Z6RevertPiS_i:                         ; @_Z6RevertPiS_i
; %bb.0:
	s_clause 0x1
	s_load_dword s0, s[4:5], 0x24
	s_load_dword s1, s[4:5], 0x10
	s_waitcnt lgkmcnt(0)
	s_and_b32 s0, s0, 0xffff
	v_mad_u64_u32 v[0:1], null, s6, s0, v[0:1]
	s_mov_b32 s0, exec_lo
	v_cmpx_ge_i32_e64 s1, v0
	s_cbranch_execz .LBB13_2
; %bb.1:
	s_load_dwordx4 s[0:3], s[4:5], 0x0
	v_ashrrev_i32_e32 v1, 31, v0
	v_lshlrev_b64 v[0:1], 2, v[0:1]
	s_waitcnt lgkmcnt(0)
	v_add_co_u32 v2, vcc_lo, s0, v0
	v_add_co_ci_u32_e64 v3, null, s1, v1, vcc_lo
	v_add_co_u32 v0, vcc_lo, s2, v0
	v_add_co_ci_u32_e64 v1, null, s3, v1, vcc_lo
	global_load_dword v4, v[2:3], off
	s_waitcnt vmcnt(0)
	v_lshlrev_b32_e32 v4, 1, v4
	global_store_dword v[2:3], v4, off
	global_load_dword v0, v[0:1], off
	s_waitcnt vmcnt(0)
	v_add_nc_u32_e32 v0, v0, v4
	global_store_dword v[2:3], v0, off
.LBB13_2:
	s_endpgm
	.section	.rodata,"a",@progbits
	.p2align	6, 0x0
	.amdhsa_kernel _Z6RevertPiS_i
		.amdhsa_group_segment_fixed_size 0
		.amdhsa_private_segment_fixed_size 0
		.amdhsa_kernarg_size 280
		.amdhsa_user_sgpr_count 6
		.amdhsa_user_sgpr_private_segment_buffer 1
		.amdhsa_user_sgpr_dispatch_ptr 0
		.amdhsa_user_sgpr_queue_ptr 0
		.amdhsa_user_sgpr_kernarg_segment_ptr 1
		.amdhsa_user_sgpr_dispatch_id 0
		.amdhsa_user_sgpr_flat_scratch_init 0
		.amdhsa_user_sgpr_private_segment_size 0
		.amdhsa_wavefront_size32 1
		.amdhsa_uses_dynamic_stack 0
		.amdhsa_system_sgpr_private_segment_wavefront_offset 0
		.amdhsa_system_sgpr_workgroup_id_x 1
		.amdhsa_system_sgpr_workgroup_id_y 0
		.amdhsa_system_sgpr_workgroup_id_z 0
		.amdhsa_system_sgpr_workgroup_info 0
		.amdhsa_system_vgpr_workitem_id 0
		.amdhsa_next_free_vgpr 5
		.amdhsa_next_free_sgpr 7
		.amdhsa_reserve_vcc 1
		.amdhsa_reserve_flat_scratch 0
		.amdhsa_float_round_mode_32 0
		.amdhsa_float_round_mode_16_64 0
		.amdhsa_float_denorm_mode_32 3
		.amdhsa_float_denorm_mode_16_64 3
		.amdhsa_dx10_clamp 1
		.amdhsa_ieee_mode 1
		.amdhsa_fp16_overflow 0
		.amdhsa_workgroup_processor_mode 1
		.amdhsa_memory_ordered 1
		.amdhsa_forward_progress 1
		.amdhsa_shared_vgpr_count 0
		.amdhsa_exception_fp_ieee_invalid_op 0
		.amdhsa_exception_fp_denorm_src 0
		.amdhsa_exception_fp_ieee_div_zero 0
		.amdhsa_exception_fp_ieee_overflow 0
		.amdhsa_exception_fp_ieee_underflow 0
		.amdhsa_exception_fp_ieee_inexact 0
		.amdhsa_exception_int_div_zero 0
	.end_amdhsa_kernel
	.text
.Lfunc_end13:
	.size	_Z6RevertPiS_i, .Lfunc_end13-_Z6RevertPiS_i
                                        ; -- End function
	.set _Z6RevertPiS_i.num_vgpr, 5
	.set _Z6RevertPiS_i.num_agpr, 0
	.set _Z6RevertPiS_i.numbered_sgpr, 7
	.set _Z6RevertPiS_i.num_named_barrier, 0
	.set _Z6RevertPiS_i.private_seg_size, 0
	.set _Z6RevertPiS_i.uses_vcc, 1
	.set _Z6RevertPiS_i.uses_flat_scratch, 0
	.set _Z6RevertPiS_i.has_dyn_sized_stack, 0
	.set _Z6RevertPiS_i.has_recursion, 0
	.set _Z6RevertPiS_i.has_indirect_call, 0
	.section	.AMDGPU.csdata,"",@progbits
; Kernel info:
; codeLenInByte = 164
; TotalNumSgprs: 9
; NumVgprs: 5
; ScratchSize: 0
; MemoryBound: 0
; FloatMode: 240
; IeeeMode: 1
; LDSByteSize: 0 bytes/workgroup (compile time only)
; SGPRBlocks: 0
; VGPRBlocks: 0
; NumSGPRsForWavesPerEU: 9
; NumVGPRsForWavesPerEU: 5
; Occupancy: 16
; WaveLimiterHint : 0
; COMPUTE_PGM_RSRC2:SCRATCH_EN: 0
; COMPUTE_PGM_RSRC2:USER_SGPR: 6
; COMPUTE_PGM_RSRC2:TRAP_HANDLER: 0
; COMPUTE_PGM_RSRC2:TGID_X_EN: 1
; COMPUTE_PGM_RSRC2:TGID_Y_EN: 0
; COMPUTE_PGM_RSRC2:TGID_Z_EN: 0
; COMPUTE_PGM_RSRC2:TIDIG_COMP_CNT: 0
	.text
	.protected	_Z5printiPN2rw3CutEPi   ; -- Begin function _Z5printiPN2rw3CutEPi
	.globl	_Z5printiPN2rw3CutEPi
	.p2align	8
	.type	_Z5printiPN2rw3CutEPi,@function
_Z5printiPN2rw3CutEPi:                  ; @_Z5printiPN2rw3CutEPi
; %bb.0:
	s_load_dword s20, s[4:5], 0x0
	s_mov_b32 s21, 1
	s_waitcnt lgkmcnt(0)
	s_cmp_lt_i32 s20, 1
	s_cbranch_scc1 .LBB14_216
; %bb.1:
	s_load_dwordx2 s[2:3], s[4:5], 0x8
	v_mbcnt_lo_u32_b32 v31, -1, 0
	s_add_u32 s8, s4, 24
	s_addc_u32 s9, s5, 0
	s_getpc_b64 s[0:1]
	s_add_u32 s0, s0, .str.4@rel32@lo+4
	s_addc_u32 s1, s1, .str.4@rel32@hi+12
	v_mov_b32_e32 v1, 0
	v_lshlrev_b32_e32 v32, 6, v31
	v_mov_b32_e32 v2, 2
	v_mov_b32_e32 v3, 1
	;; [unrolled: 1-line block ×3, first 2 shown]
	s_cmp_lg_u64 s[0:1], 0
	s_mov_b32 s4, 0
	s_cselect_b32 s22, -1, 0
	s_branch .LBB14_4
.LBB14_2:                               ;   in Loop: Header=BB14_4 Depth=1
	s_or_b32 exec_lo, exec_lo, s5
.LBB14_3:                               ;   in Loop: Header=BB14_4 Depth=1
	s_add_i32 s0, s21, 1
	s_cmp_eq_u32 s21, s20
	s_mov_b32 s21, s0
	s_cbranch_scc1 .LBB14_216
.LBB14_4:                               ; =>This Loop Header: Depth=1
                                        ;     Child Loop BB14_8 Depth 2
                                        ;     Child Loop BB14_16 Depth 2
	;; [unrolled: 1-line block ×9, first 2 shown]
                                        ;       Child Loop BB14_37 Depth 3
                                        ;       Child Loop BB14_44 Depth 3
	;; [unrolled: 1-line block ×11, first 2 shown]
                                        ;     Child Loop BB14_141 Depth 2
                                        ;     Child Loop BB14_149 Depth 2
	;; [unrolled: 1-line block ×12, first 2 shown]
	s_mul_i32 s0, s21, 28
	s_mul_hi_u32 s1, s21, 28
	s_waitcnt lgkmcnt(0)
	s_add_u32 s0, s2, s0
	s_addc_u32 s1, s3, s1
	global_load_ubyte v0, v1, s[0:1] offset:24
	s_waitcnt vmcnt(0)
	v_cmp_eq_u32_e32 vcc_lo, 0, v0
	s_cbranch_vccnz .LBB14_3
; %bb.5:                                ;   in Loop: Header=BB14_4 Depth=1
	s_clause 0x1
	global_load_dword v33, v1, s[0:1] offset:20
	global_load_dword v8, v1, s[0:1]
	s_load_dwordx2 s[10:11], s[8:9], 0x50
	v_readfirstlane_b32 s0, v31
	v_mov_b32_e32 v5, 0
	v_mov_b32_e32 v6, 0
	v_cmp_eq_u32_e64 s0, s0, v31
	s_and_saveexec_b32 s1, s0
	s_cbranch_execz .LBB14_11
; %bb.6:                                ;   in Loop: Header=BB14_4 Depth=1
	s_waitcnt lgkmcnt(0)
	global_load_dwordx2 v[11:12], v1, s[10:11] offset:24 glc dlc
	s_waitcnt vmcnt(0)
	buffer_gl1_inv
	buffer_gl0_inv
	s_clause 0x1
	global_load_dwordx2 v[5:6], v1, s[10:11] offset:40
	global_load_dwordx2 v[9:10], v1, s[10:11]
	s_mov_b32 s5, exec_lo
	s_waitcnt vmcnt(1)
	v_and_b32_e32 v0, v6, v12
	v_and_b32_e32 v5, v5, v11
	v_mul_lo_u32 v0, v0, 24
	v_mul_hi_u32 v6, v5, 24
	v_mul_lo_u32 v5, v5, 24
	v_add_nc_u32_e32 v0, v6, v0
	s_waitcnt vmcnt(0)
	v_add_co_u32 v5, vcc_lo, v9, v5
	v_add_co_ci_u32_e64 v6, null, v10, v0, vcc_lo
	global_load_dwordx2 v[9:10], v[5:6], off glc dlc
	s_waitcnt vmcnt(0)
	global_atomic_cmpswap_x2 v[5:6], v1, v[9:12], s[10:11] offset:24 glc
	s_waitcnt vmcnt(0)
	buffer_gl1_inv
	buffer_gl0_inv
	v_cmpx_ne_u64_e64 v[5:6], v[11:12]
	s_cbranch_execz .LBB14_10
; %bb.7:                                ;   in Loop: Header=BB14_4 Depth=1
	s_mov_b32 s6, 0
	.p2align	6
.LBB14_8:                               ;   Parent Loop BB14_4 Depth=1
                                        ; =>  This Inner Loop Header: Depth=2
	s_sleep 1
	s_clause 0x1
	global_load_dwordx2 v[9:10], v1, s[10:11] offset:40
	global_load_dwordx2 v[13:14], v1, s[10:11]
	v_mov_b32_e32 v12, v6
	v_mov_b32_e32 v11, v5
	s_waitcnt vmcnt(1)
	v_and_b32_e32 v0, v9, v11
	v_and_b32_e32 v7, v10, v12
	s_waitcnt vmcnt(0)
	v_mad_u64_u32 v[5:6], null, v0, 24, v[13:14]
	v_mov_b32_e32 v0, v6
	v_mad_u64_u32 v[6:7], null, v7, 24, v[0:1]
	global_load_dwordx2 v[9:10], v[5:6], off glc dlc
	s_waitcnt vmcnt(0)
	global_atomic_cmpswap_x2 v[5:6], v1, v[9:12], s[10:11] offset:24 glc
	s_waitcnt vmcnt(0)
	buffer_gl1_inv
	buffer_gl0_inv
	v_cmp_eq_u64_e32 vcc_lo, v[5:6], v[11:12]
	s_or_b32 s6, vcc_lo, s6
	s_andn2_b32 exec_lo, exec_lo, s6
	s_cbranch_execnz .LBB14_8
; %bb.9:                                ;   in Loop: Header=BB14_4 Depth=1
	s_or_b32 exec_lo, exec_lo, s6
.LBB14_10:                              ;   in Loop: Header=BB14_4 Depth=1
	s_or_b32 exec_lo, exec_lo, s5
.LBB14_11:                              ;   in Loop: Header=BB14_4 Depth=1
	s_or_b32 exec_lo, exec_lo, s1
	s_waitcnt lgkmcnt(0)
	s_clause 0x1
	global_load_dwordx2 v[13:14], v1, s[10:11] offset:40
	global_load_dwordx4 v[9:12], v1, s[10:11]
	v_readfirstlane_b32 s13, v6
	v_readfirstlane_b32 s12, v5
	s_mov_b32 s1, exec_lo
	s_waitcnt vmcnt(1)
	v_readfirstlane_b32 s6, v13
	v_readfirstlane_b32 s7, v14
	s_and_b64 s[6:7], s[6:7], s[12:13]
	s_mul_i32 s5, s7, 24
	s_mul_hi_u32 s14, s6, 24
	s_mul_i32 s15, s6, 24
	s_add_i32 s14, s14, s5
	s_waitcnt vmcnt(0)
	v_add_co_u32 v13, vcc_lo, v9, s15
	v_add_co_ci_u32_e64 v14, null, s14, v10, vcc_lo
	s_and_saveexec_b32 s5, s0
	s_cbranch_execz .LBB14_13
; %bb.12:                               ;   in Loop: Header=BB14_4 Depth=1
	v_mov_b32_e32 v0, s1
	global_store_dwordx4 v[13:14], v[0:3], off offset:8
.LBB14_13:                              ;   in Loop: Header=BB14_4 Depth=1
	s_or_b32 exec_lo, exec_lo, s5
	s_lshl_b64 s[6:7], s[6:7], 12
	s_mov_b32 s5, s4
	v_add_co_u32 v15, vcc_lo, v11, s6
	v_add_co_ci_u32_e64 v16, null, s7, v12, vcc_lo
	s_mov_b32 s7, s4
	s_mov_b32 s6, s4
	v_mov_b32_e32 v5, v1
	v_mov_b32_e32 v6, v1
	;; [unrolled: 1-line block ×3, first 2 shown]
	v_readfirstlane_b32 s14, v15
	v_readfirstlane_b32 s15, v16
	v_mov_b32_e32 v20, s7
	v_mov_b32_e32 v19, s6
	;; [unrolled: 1-line block ×4, first 2 shown]
	global_store_dwordx4 v32, v[4:7], s[14:15]
	global_store_dwordx4 v32, v[17:20], s[14:15] offset:16
	global_store_dwordx4 v32, v[17:20], s[14:15] offset:32
	;; [unrolled: 1-line block ×3, first 2 shown]
	s_and_saveexec_b32 s1, s0
	s_cbranch_execz .LBB14_21
; %bb.14:                               ;   in Loop: Header=BB14_4 Depth=1
	s_clause 0x1
	global_load_dwordx2 v[19:20], v1, s[10:11] offset:32 glc dlc
	global_load_dwordx2 v[5:6], v1, s[10:11] offset:40
	v_mov_b32_e32 v17, s12
	v_mov_b32_e32 v18, s13
	s_mov_b32 s5, exec_lo
	s_waitcnt vmcnt(0)
	v_and_b32_e32 v0, s13, v6
	v_and_b32_e32 v5, s12, v5
	v_mul_lo_u32 v0, v0, 24
	v_mul_hi_u32 v6, v5, 24
	v_mul_lo_u32 v5, v5, 24
	v_add_nc_u32_e32 v0, v6, v0
	v_add_co_u32 v5, vcc_lo, v9, v5
	v_add_co_ci_u32_e64 v6, null, v10, v0, vcc_lo
	global_store_dwordx2 v[5:6], v[19:20], off
	s_waitcnt_vscnt null, 0x0
	global_atomic_cmpswap_x2 v[11:12], v1, v[17:20], s[10:11] offset:32 glc
	s_waitcnt vmcnt(0)
	v_cmpx_ne_u64_e64 v[11:12], v[19:20]
	s_cbranch_execz .LBB14_17
; %bb.15:                               ;   in Loop: Header=BB14_4 Depth=1
	s_mov_b32 s6, 0
.LBB14_16:                              ;   Parent Loop BB14_4 Depth=1
                                        ; =>  This Inner Loop Header: Depth=2
	v_mov_b32_e32 v9, s12
	v_mov_b32_e32 v10, s13
	s_sleep 1
	global_store_dwordx2 v[5:6], v[11:12], off
	s_waitcnt_vscnt null, 0x0
	global_atomic_cmpswap_x2 v[9:10], v1, v[9:12], s[10:11] offset:32 glc
	s_waitcnt vmcnt(0)
	v_cmp_eq_u64_e32 vcc_lo, v[9:10], v[11:12]
	v_mov_b32_e32 v12, v10
	v_mov_b32_e32 v11, v9
	s_or_b32 s6, vcc_lo, s6
	s_andn2_b32 exec_lo, exec_lo, s6
	s_cbranch_execnz .LBB14_16
.LBB14_17:                              ;   in Loop: Header=BB14_4 Depth=1
	s_or_b32 exec_lo, exec_lo, s5
	global_load_dwordx2 v[5:6], v1, s[10:11] offset:16
	s_mov_b32 s6, exec_lo
	s_mov_b32 s5, exec_lo
	v_mbcnt_lo_u32_b32 v0, s6, 0
	v_cmpx_eq_u32_e32 0, v0
	s_cbranch_execz .LBB14_19
; %bb.18:                               ;   in Loop: Header=BB14_4 Depth=1
	s_bcnt1_i32_b32 s6, s6
	v_mov_b32_e32 v0, s6
	s_waitcnt vmcnt(0)
	global_atomic_add_x2 v[5:6], v[0:1], off offset:8
.LBB14_19:                              ;   in Loop: Header=BB14_4 Depth=1
	s_or_b32 exec_lo, exec_lo, s5
	s_waitcnt vmcnt(0)
	global_load_dwordx2 v[9:10], v[5:6], off offset:16
	s_waitcnt vmcnt(0)
	v_cmp_eq_u64_e32 vcc_lo, 0, v[9:10]
	s_cbranch_vccnz .LBB14_21
; %bb.20:                               ;   in Loop: Header=BB14_4 Depth=1
	global_load_dword v0, v[5:6], off offset:24
	s_waitcnt vmcnt(0)
	v_readfirstlane_b32 s5, v0
	s_waitcnt_vscnt null, 0x0
	global_store_dwordx2 v[9:10], v[0:1], off
	s_and_b32 m0, s5, 0x7fffff
	s_sendmsg sendmsg(MSG_INTERRUPT)
.LBB14_21:                              ;   in Loop: Header=BB14_4 Depth=1
	s_or_b32 exec_lo, exec_lo, s1
	v_add_co_u32 v5, vcc_lo, v15, v32
	v_add_co_ci_u32_e64 v6, null, 0, v16, vcc_lo
	s_branch .LBB14_25
	.p2align	6
.LBB14_22:                              ;   in Loop: Header=BB14_25 Depth=2
	s_or_b32 exec_lo, exec_lo, s1
	v_readfirstlane_b32 s1, v0
	s_cmp_eq_u32 s1, 0
	s_cbranch_scc1 .LBB14_24
; %bb.23:                               ;   in Loop: Header=BB14_25 Depth=2
	s_sleep 1
	s_cbranch_execnz .LBB14_25
	s_branch .LBB14_27
	.p2align	6
.LBB14_24:                              ;   in Loop: Header=BB14_4 Depth=1
	s_branch .LBB14_27
.LBB14_25:                              ;   Parent Loop BB14_4 Depth=1
                                        ; =>  This Inner Loop Header: Depth=2
	v_mov_b32_e32 v0, 1
	s_and_saveexec_b32 s1, s0
	s_cbranch_execz .LBB14_22
; %bb.26:                               ;   in Loop: Header=BB14_25 Depth=2
	global_load_dword v0, v[13:14], off offset:20 glc dlc
	s_waitcnt vmcnt(0)
	buffer_gl1_inv
	buffer_gl0_inv
	v_and_b32_e32 v0, 1, v0
	s_branch .LBB14_22
.LBB14_27:                              ;   in Loop: Header=BB14_4 Depth=1
	global_load_dwordx2 v[9:10], v[5:6], off
	s_and_saveexec_b32 s5, s0
	s_cbranch_execz .LBB14_31
; %bb.28:                               ;   in Loop: Header=BB14_4 Depth=1
	s_clause 0x2
	global_load_dwordx2 v[5:6], v1, s[10:11] offset:40
	global_load_dwordx2 v[15:16], v1, s[10:11] offset:24 glc dlc
	global_load_dwordx2 v[11:12], v1, s[10:11]
	s_waitcnt vmcnt(2)
	v_readfirstlane_b32 s6, v5
	v_readfirstlane_b32 s7, v6
	s_add_u32 s14, s6, 1
	s_addc_u32 s15, s7, 0
	s_add_u32 s0, s14, s12
	s_addc_u32 s1, s15, s13
	s_cmp_eq_u64 s[0:1], 0
	s_cselect_b32 s1, s15, s1
	s_cselect_b32 s0, s14, s0
	v_mov_b32_e32 v14, s1
	s_and_b64 s[6:7], s[0:1], s[6:7]
	v_mov_b32_e32 v13, s0
	s_mul_i32 s7, s7, 24
	s_mul_hi_u32 s12, s6, 24
	s_mul_i32 s6, s6, 24
	s_add_i32 s12, s12, s7
	s_waitcnt vmcnt(0)
	v_add_co_u32 v5, vcc_lo, v11, s6
	v_add_co_ci_u32_e64 v6, null, s12, v12, vcc_lo
	global_store_dwordx2 v[5:6], v[15:16], off
	s_waitcnt_vscnt null, 0x0
	global_atomic_cmpswap_x2 v[13:14], v1, v[13:16], s[10:11] offset:24 glc
	s_waitcnt vmcnt(0)
	v_cmp_ne_u64_e32 vcc_lo, v[13:14], v[15:16]
	s_and_b32 exec_lo, exec_lo, vcc_lo
	s_cbranch_execz .LBB14_31
; %bb.29:                               ;   in Loop: Header=BB14_4 Depth=1
	s_mov_b32 s6, 0
.LBB14_30:                              ;   Parent Loop BB14_4 Depth=1
                                        ; =>  This Inner Loop Header: Depth=2
	v_mov_b32_e32 v11, s0
	v_mov_b32_e32 v12, s1
	s_sleep 1
	global_store_dwordx2 v[5:6], v[13:14], off
	s_waitcnt_vscnt null, 0x0
	global_atomic_cmpswap_x2 v[11:12], v1, v[11:14], s[10:11] offset:24 glc
	s_waitcnt vmcnt(0)
	v_cmp_eq_u64_e32 vcc_lo, v[11:12], v[13:14]
	v_mov_b32_e32 v14, v12
	v_mov_b32_e32 v13, v11
	s_or_b32 s6, vcc_lo, s6
	s_andn2_b32 exec_lo, exec_lo, s6
	s_cbranch_execnz .LBB14_30
.LBB14_31:                              ;   in Loop: Header=BB14_4 Depth=1
	s_or_b32 exec_lo, exec_lo, s5
	s_and_b32 vcc_lo, exec_lo, s22
	s_cbranch_vccz .LBB14_110
; %bb.32:                               ;   in Loop: Header=BB14_4 Depth=1
	s_waitcnt vmcnt(0)
	v_and_b32_e32 v7, 2, v9
	v_and_b32_e32 v11, -3, v9
	v_mov_b32_e32 v12, v10
	s_mov_b64 s[12:13], 20
	s_getpc_b64 s[6:7]
	s_add_u32 s6, s6, .str.4@rel32@lo+4
	s_addc_u32 s7, s7, .str.4@rel32@hi+12
	s_branch .LBB14_34
.LBB14_33:                              ;   in Loop: Header=BB14_34 Depth=2
	s_or_b32 exec_lo, exec_lo, s5
	s_sub_u32 s12, s12, s14
	s_subb_u32 s13, s13, s15
	s_add_u32 s6, s6, s14
	s_addc_u32 s7, s7, s15
	s_cmp_lg_u64 s[12:13], 0
	s_cbranch_scc0 .LBB14_109
.LBB14_34:                              ;   Parent Loop BB14_4 Depth=1
                                        ; =>  This Loop Header: Depth=2
                                        ;       Child Loop BB14_37 Depth 3
                                        ;       Child Loop BB14_44 Depth 3
	;; [unrolled: 1-line block ×11, first 2 shown]
	v_cmp_lt_u64_e64 s0, s[12:13], 56
	v_cmp_gt_u64_e64 s5, s[12:13], 7
	s_and_b32 s0, s0, exec_lo
	s_cselect_b32 s15, s13, 0
	s_cselect_b32 s14, s12, 56
	s_add_u32 s0, s6, 8
	s_addc_u32 s1, s7, 0
	s_and_b32 vcc_lo, exec_lo, s5
	s_cbranch_vccnz .LBB14_39
; %bb.35:                               ;   in Loop: Header=BB14_34 Depth=2
	v_mov_b32_e32 v13, 0
	v_mov_b32_e32 v14, 0
	s_cmp_eq_u64 s[12:13], 0
	s_cbranch_scc1 .LBB14_38
; %bb.36:                               ;   in Loop: Header=BB14_34 Depth=2
	s_lshl_b64 s[0:1], s[14:15], 3
	s_mov_b64 s[16:17], 0
	s_mov_b64 s[18:19], s[6:7]
.LBB14_37:                              ;   Parent Loop BB14_4 Depth=1
                                        ;     Parent Loop BB14_34 Depth=2
                                        ; =>    This Inner Loop Header: Depth=3
	global_load_ubyte v0, v1, s[18:19]
	s_waitcnt vmcnt(0)
	v_and_b32_e32 v0, 0xffff, v0
	v_lshlrev_b64 v[5:6], s16, v[0:1]
	s_add_u32 s16, s16, 8
	s_addc_u32 s17, s17, 0
	s_add_u32 s18, s18, 1
	s_addc_u32 s19, s19, 0
	s_cmp_lg_u32 s0, s16
	v_or_b32_e32 v13, v5, v13
	v_or_b32_e32 v14, v6, v14
	s_cbranch_scc1 .LBB14_37
.LBB14_38:                              ;   in Loop: Header=BB14_34 Depth=2
	s_mov_b64 s[0:1], s[6:7]
	s_mov_b32 s5, 0
	s_cbranch_execz .LBB14_40
	s_branch .LBB14_41
.LBB14_39:                              ;   in Loop: Header=BB14_34 Depth=2
	s_mov_b32 s5, 0
.LBB14_40:                              ;   in Loop: Header=BB14_34 Depth=2
	global_load_dwordx2 v[13:14], v1, s[6:7]
	s_add_i32 s5, s14, -8
.LBB14_41:                              ;   in Loop: Header=BB14_34 Depth=2
	s_add_u32 s16, s0, 8
	s_addc_u32 s17, s1, 0
	s_cmp_gt_u32 s5, 7
	s_cbranch_scc1 .LBB14_46
; %bb.42:                               ;   in Loop: Header=BB14_34 Depth=2
	v_mov_b32_e32 v15, 0
	v_mov_b32_e32 v16, 0
	s_cmp_eq_u32 s5, 0
	s_cbranch_scc1 .LBB14_45
; %bb.43:                               ;   in Loop: Header=BB14_34 Depth=2
	s_mov_b64 s[16:17], 0
	s_mov_b64 s[18:19], 0
.LBB14_44:                              ;   Parent Loop BB14_4 Depth=1
                                        ;     Parent Loop BB14_34 Depth=2
                                        ; =>    This Inner Loop Header: Depth=3
	s_add_u32 s24, s0, s18
	s_addc_u32 s25, s1, s19
	s_add_u32 s18, s18, 1
	global_load_ubyte v0, v1, s[24:25]
	s_addc_u32 s19, s19, 0
	s_waitcnt vmcnt(0)
	v_and_b32_e32 v0, 0xffff, v0
	v_lshlrev_b64 v[5:6], s16, v[0:1]
	s_add_u32 s16, s16, 8
	s_addc_u32 s17, s17, 0
	s_cmp_lg_u32 s5, s18
	v_or_b32_e32 v15, v5, v15
	v_or_b32_e32 v16, v6, v16
	s_cbranch_scc1 .LBB14_44
.LBB14_45:                              ;   in Loop: Header=BB14_34 Depth=2
	s_mov_b64 s[16:17], s[0:1]
	s_mov_b32 s23, 0
	s_cbranch_execz .LBB14_47
	s_branch .LBB14_48
.LBB14_46:                              ;   in Loop: Header=BB14_34 Depth=2
                                        ; implicit-def: $vgpr15_vgpr16
	s_mov_b32 s23, 0
.LBB14_47:                              ;   in Loop: Header=BB14_34 Depth=2
	global_load_dwordx2 v[15:16], v1, s[0:1]
	s_add_i32 s23, s5, -8
.LBB14_48:                              ;   in Loop: Header=BB14_34 Depth=2
	s_add_u32 s0, s16, 8
	s_addc_u32 s1, s17, 0
	s_cmp_gt_u32 s23, 7
	s_cbranch_scc1 .LBB14_53
; %bb.49:                               ;   in Loop: Header=BB14_34 Depth=2
	v_mov_b32_e32 v17, 0
	v_mov_b32_e32 v18, 0
	s_cmp_eq_u32 s23, 0
	s_cbranch_scc1 .LBB14_52
; %bb.50:                               ;   in Loop: Header=BB14_34 Depth=2
	s_mov_b64 s[0:1], 0
	s_mov_b64 s[18:19], 0
.LBB14_51:                              ;   Parent Loop BB14_4 Depth=1
                                        ;     Parent Loop BB14_34 Depth=2
                                        ; =>    This Inner Loop Header: Depth=3
	s_add_u32 s24, s16, s18
	s_addc_u32 s25, s17, s19
	s_add_u32 s18, s18, 1
	global_load_ubyte v0, v1, s[24:25]
	s_addc_u32 s19, s19, 0
	s_waitcnt vmcnt(0)
	v_and_b32_e32 v0, 0xffff, v0
	v_lshlrev_b64 v[5:6], s0, v[0:1]
	s_add_u32 s0, s0, 8
	s_addc_u32 s1, s1, 0
	s_cmp_lg_u32 s23, s18
	v_or_b32_e32 v17, v5, v17
	v_or_b32_e32 v18, v6, v18
	s_cbranch_scc1 .LBB14_51
.LBB14_52:                              ;   in Loop: Header=BB14_34 Depth=2
	s_mov_b64 s[0:1], s[16:17]
	s_mov_b32 s5, 0
	s_cbranch_execz .LBB14_54
	s_branch .LBB14_55
.LBB14_53:                              ;   in Loop: Header=BB14_34 Depth=2
	s_mov_b32 s5, 0
.LBB14_54:                              ;   in Loop: Header=BB14_34 Depth=2
	global_load_dwordx2 v[17:18], v1, s[16:17]
	s_add_i32 s5, s23, -8
.LBB14_55:                              ;   in Loop: Header=BB14_34 Depth=2
	s_add_u32 s16, s0, 8
	s_addc_u32 s17, s1, 0
	s_cmp_gt_u32 s5, 7
	s_cbranch_scc1 .LBB14_60
; %bb.56:                               ;   in Loop: Header=BB14_34 Depth=2
	v_mov_b32_e32 v19, 0
	v_mov_b32_e32 v20, 0
	s_cmp_eq_u32 s5, 0
	s_cbranch_scc1 .LBB14_59
; %bb.57:                               ;   in Loop: Header=BB14_34 Depth=2
	s_mov_b64 s[16:17], 0
	s_mov_b64 s[18:19], 0
.LBB14_58:                              ;   Parent Loop BB14_4 Depth=1
                                        ;     Parent Loop BB14_34 Depth=2
                                        ; =>    This Inner Loop Header: Depth=3
	s_add_u32 s24, s0, s18
	s_addc_u32 s25, s1, s19
	s_add_u32 s18, s18, 1
	global_load_ubyte v0, v1, s[24:25]
	s_addc_u32 s19, s19, 0
	s_waitcnt vmcnt(0)
	v_and_b32_e32 v0, 0xffff, v0
	v_lshlrev_b64 v[5:6], s16, v[0:1]
	s_add_u32 s16, s16, 8
	s_addc_u32 s17, s17, 0
	s_cmp_lg_u32 s5, s18
	v_or_b32_e32 v19, v5, v19
	v_or_b32_e32 v20, v6, v20
	s_cbranch_scc1 .LBB14_58
.LBB14_59:                              ;   in Loop: Header=BB14_34 Depth=2
	s_mov_b64 s[16:17], s[0:1]
	s_mov_b32 s23, 0
	s_cbranch_execz .LBB14_61
	s_branch .LBB14_62
.LBB14_60:                              ;   in Loop: Header=BB14_34 Depth=2
                                        ; implicit-def: $vgpr19_vgpr20
	s_mov_b32 s23, 0
.LBB14_61:                              ;   in Loop: Header=BB14_34 Depth=2
	global_load_dwordx2 v[19:20], v1, s[0:1]
	s_add_i32 s23, s5, -8
.LBB14_62:                              ;   in Loop: Header=BB14_34 Depth=2
	s_add_u32 s0, s16, 8
	s_addc_u32 s1, s17, 0
	s_cmp_gt_u32 s23, 7
	s_cbranch_scc1 .LBB14_67
; %bb.63:                               ;   in Loop: Header=BB14_34 Depth=2
	v_mov_b32_e32 v21, 0
	v_mov_b32_e32 v22, 0
	s_cmp_eq_u32 s23, 0
	s_cbranch_scc1 .LBB14_66
; %bb.64:                               ;   in Loop: Header=BB14_34 Depth=2
	s_mov_b64 s[0:1], 0
	s_mov_b64 s[18:19], 0
.LBB14_65:                              ;   Parent Loop BB14_4 Depth=1
                                        ;     Parent Loop BB14_34 Depth=2
                                        ; =>    This Inner Loop Header: Depth=3
	s_add_u32 s24, s16, s18
	s_addc_u32 s25, s17, s19
	s_add_u32 s18, s18, 1
	global_load_ubyte v0, v1, s[24:25]
	s_addc_u32 s19, s19, 0
	s_waitcnt vmcnt(0)
	v_and_b32_e32 v0, 0xffff, v0
	v_lshlrev_b64 v[5:6], s0, v[0:1]
	s_add_u32 s0, s0, 8
	s_addc_u32 s1, s1, 0
	s_cmp_lg_u32 s23, s18
	v_or_b32_e32 v21, v5, v21
	v_or_b32_e32 v22, v6, v22
	s_cbranch_scc1 .LBB14_65
.LBB14_66:                              ;   in Loop: Header=BB14_34 Depth=2
	s_mov_b64 s[0:1], s[16:17]
	s_mov_b32 s5, 0
	s_cbranch_execz .LBB14_68
	s_branch .LBB14_69
.LBB14_67:                              ;   in Loop: Header=BB14_34 Depth=2
	s_mov_b32 s5, 0
.LBB14_68:                              ;   in Loop: Header=BB14_34 Depth=2
	global_load_dwordx2 v[21:22], v1, s[16:17]
	s_add_i32 s5, s23, -8
.LBB14_69:                              ;   in Loop: Header=BB14_34 Depth=2
	s_add_u32 s16, s0, 8
	s_addc_u32 s17, s1, 0
	s_cmp_gt_u32 s5, 7
	s_cbranch_scc1 .LBB14_74
; %bb.70:                               ;   in Loop: Header=BB14_34 Depth=2
	v_mov_b32_e32 v23, 0
	v_mov_b32_e32 v24, 0
	s_cmp_eq_u32 s5, 0
	s_cbranch_scc1 .LBB14_73
; %bb.71:                               ;   in Loop: Header=BB14_34 Depth=2
	s_mov_b64 s[16:17], 0
	s_mov_b64 s[18:19], 0
.LBB14_72:                              ;   Parent Loop BB14_4 Depth=1
                                        ;     Parent Loop BB14_34 Depth=2
                                        ; =>    This Inner Loop Header: Depth=3
	s_add_u32 s24, s0, s18
	s_addc_u32 s25, s1, s19
	s_add_u32 s18, s18, 1
	global_load_ubyte v0, v1, s[24:25]
	s_addc_u32 s19, s19, 0
	s_waitcnt vmcnt(0)
	v_and_b32_e32 v0, 0xffff, v0
	v_lshlrev_b64 v[5:6], s16, v[0:1]
	s_add_u32 s16, s16, 8
	s_addc_u32 s17, s17, 0
	s_cmp_lg_u32 s5, s18
	v_or_b32_e32 v23, v5, v23
	v_or_b32_e32 v24, v6, v24
	s_cbranch_scc1 .LBB14_72
.LBB14_73:                              ;   in Loop: Header=BB14_34 Depth=2
	s_mov_b64 s[16:17], s[0:1]
	s_mov_b32 s23, 0
	s_cbranch_execz .LBB14_75
	s_branch .LBB14_76
.LBB14_74:                              ;   in Loop: Header=BB14_34 Depth=2
                                        ; implicit-def: $vgpr23_vgpr24
	s_mov_b32 s23, 0
.LBB14_75:                              ;   in Loop: Header=BB14_34 Depth=2
	global_load_dwordx2 v[23:24], v1, s[0:1]
	s_add_i32 s23, s5, -8
.LBB14_76:                              ;   in Loop: Header=BB14_34 Depth=2
	s_cmp_gt_u32 s23, 7
	s_cbranch_scc1 .LBB14_81
; %bb.77:                               ;   in Loop: Header=BB14_34 Depth=2
	v_mov_b32_e32 v25, 0
	v_mov_b32_e32 v26, 0
	s_cmp_eq_u32 s23, 0
	s_cbranch_scc1 .LBB14_80
; %bb.78:                               ;   in Loop: Header=BB14_34 Depth=2
	s_mov_b64 s[0:1], 0
	s_mov_b64 s[18:19], s[16:17]
.LBB14_79:                              ;   Parent Loop BB14_4 Depth=1
                                        ;     Parent Loop BB14_34 Depth=2
                                        ; =>    This Inner Loop Header: Depth=3
	global_load_ubyte v0, v1, s[18:19]
	s_add_i32 s23, s23, -1
	s_waitcnt vmcnt(0)
	v_and_b32_e32 v0, 0xffff, v0
	v_lshlrev_b64 v[5:6], s0, v[0:1]
	s_add_u32 s0, s0, 8
	s_addc_u32 s1, s1, 0
	s_add_u32 s18, s18, 1
	s_addc_u32 s19, s19, 0
	s_cmp_lg_u32 s23, 0
	v_or_b32_e32 v25, v5, v25
	v_or_b32_e32 v26, v6, v26
	s_cbranch_scc1 .LBB14_79
.LBB14_80:                              ;   in Loop: Header=BB14_34 Depth=2
	s_cbranch_execz .LBB14_82
	s_branch .LBB14_83
.LBB14_81:                              ;   in Loop: Header=BB14_34 Depth=2
.LBB14_82:                              ;   in Loop: Header=BB14_34 Depth=2
	global_load_dwordx2 v[25:26], v1, s[16:17]
.LBB14_83:                              ;   in Loop: Header=BB14_34 Depth=2
	v_readfirstlane_b32 s0, v31
	v_mov_b32_e32 v5, 0
	v_mov_b32_e32 v6, 0
	v_cmp_eq_u32_e64 s0, s0, v31
	s_and_saveexec_b32 s1, s0
	s_cbranch_execz .LBB14_89
; %bb.84:                               ;   in Loop: Header=BB14_34 Depth=2
	global_load_dwordx2 v[29:30], v1, s[10:11] offset:24 glc dlc
	s_waitcnt vmcnt(0)
	buffer_gl1_inv
	buffer_gl0_inv
	s_clause 0x1
	global_load_dwordx2 v[5:6], v1, s[10:11] offset:40
	global_load_dwordx2 v[27:28], v1, s[10:11]
	s_mov_b32 s5, exec_lo
	s_waitcnt vmcnt(1)
	v_and_b32_e32 v0, v6, v30
	v_and_b32_e32 v5, v5, v29
	v_mul_lo_u32 v0, v0, 24
	v_mul_hi_u32 v6, v5, 24
	v_mul_lo_u32 v5, v5, 24
	v_add_nc_u32_e32 v0, v6, v0
	s_waitcnt vmcnt(0)
	v_add_co_u32 v5, vcc_lo, v27, v5
	v_add_co_ci_u32_e64 v6, null, v28, v0, vcc_lo
	global_load_dwordx2 v[27:28], v[5:6], off glc dlc
	s_waitcnt vmcnt(0)
	global_atomic_cmpswap_x2 v[5:6], v1, v[27:30], s[10:11] offset:24 glc
	s_waitcnt vmcnt(0)
	buffer_gl1_inv
	buffer_gl0_inv
	v_cmpx_ne_u64_e64 v[5:6], v[29:30]
	s_cbranch_execz .LBB14_88
; %bb.85:                               ;   in Loop: Header=BB14_34 Depth=2
	s_mov_b32 s16, 0
	.p2align	6
.LBB14_86:                              ;   Parent Loop BB14_4 Depth=1
                                        ;     Parent Loop BB14_34 Depth=2
                                        ; =>    This Inner Loop Header: Depth=3
	s_sleep 1
	s_clause 0x1
	global_load_dwordx2 v[27:28], v1, s[10:11] offset:40
	global_load_dwordx2 v[34:35], v1, s[10:11]
	v_mov_b32_e32 v30, v6
	v_mov_b32_e32 v29, v5
	s_waitcnt vmcnt(1)
	v_and_b32_e32 v0, v27, v29
	v_and_b32_e32 v27, v28, v30
	s_waitcnt vmcnt(0)
	v_mad_u64_u32 v[5:6], null, v0, 24, v[34:35]
	v_mov_b32_e32 v0, v6
	v_mad_u64_u32 v[27:28], null, v27, 24, v[0:1]
	v_mov_b32_e32 v6, v27
	global_load_dwordx2 v[27:28], v[5:6], off glc dlc
	s_waitcnt vmcnt(0)
	global_atomic_cmpswap_x2 v[5:6], v1, v[27:30], s[10:11] offset:24 glc
	s_waitcnt vmcnt(0)
	buffer_gl1_inv
	buffer_gl0_inv
	v_cmp_eq_u64_e32 vcc_lo, v[5:6], v[29:30]
	s_or_b32 s16, vcc_lo, s16
	s_andn2_b32 exec_lo, exec_lo, s16
	s_cbranch_execnz .LBB14_86
; %bb.87:                               ;   in Loop: Header=BB14_34 Depth=2
	s_or_b32 exec_lo, exec_lo, s16
.LBB14_88:                              ;   in Loop: Header=BB14_34 Depth=2
	s_or_b32 exec_lo, exec_lo, s5
.LBB14_89:                              ;   in Loop: Header=BB14_34 Depth=2
	s_or_b32 exec_lo, exec_lo, s1
	s_clause 0x1
	global_load_dwordx2 v[34:35], v1, s[10:11] offset:40
	global_load_dwordx4 v[27:30], v1, s[10:11]
	v_readfirstlane_b32 s17, v6
	v_readfirstlane_b32 s16, v5
	s_mov_b32 s1, exec_lo
	s_waitcnt vmcnt(1)
	v_readfirstlane_b32 s18, v34
	v_readfirstlane_b32 s19, v35
	s_and_b64 s[18:19], s[18:19], s[16:17]
	s_mul_i32 s5, s19, 24
	s_mul_hi_u32 s23, s18, 24
	s_mul_i32 s24, s18, 24
	s_add_i32 s23, s23, s5
	s_waitcnt vmcnt(0)
	v_add_co_u32 v5, vcc_lo, v27, s24
	v_add_co_ci_u32_e64 v6, null, s23, v28, vcc_lo
	s_and_saveexec_b32 s5, s0
	s_cbranch_execz .LBB14_91
; %bb.90:                               ;   in Loop: Header=BB14_34 Depth=2
	v_mov_b32_e32 v0, s1
	global_store_dwordx4 v[5:6], v[0:3], off offset:8
.LBB14_91:                              ;   in Loop: Header=BB14_34 Depth=2
	s_or_b32 exec_lo, exec_lo, s5
	v_cmp_lt_u64_e64 vcc_lo, s[12:13], 57
	s_lshl_b64 s[18:19], s[18:19], 12
	v_and_b32_e32 v11, 0xffffff1f, v11
	s_lshl_b32 s1, s14, 2
	s_add_i32 s1, s1, 28
	v_cndmask_b32_e32 v0, 0, v7, vcc_lo
	v_add_co_u32 v29, vcc_lo, v29, s18
	v_add_co_ci_u32_e64 v30, null, s19, v30, vcc_lo
	v_or_b32_e32 v0, v11, v0
	v_readfirstlane_b32 s18, v29
	v_readfirstlane_b32 s19, v30
	v_and_or_b32 v11, 0x1e0, s1, v0
	global_store_dwordx4 v32, v[15:18], s[18:19] offset:16
	global_store_dwordx4 v32, v[11:14], s[18:19]
	global_store_dwordx4 v32, v[19:22], s[18:19] offset:32
	global_store_dwordx4 v32, v[23:26], s[18:19] offset:48
	s_and_saveexec_b32 s1, s0
	s_cbranch_execz .LBB14_99
; %bb.92:                               ;   in Loop: Header=BB14_34 Depth=2
	s_clause 0x1
	global_load_dwordx2 v[19:20], v1, s[10:11] offset:32 glc dlc
	global_load_dwordx2 v[11:12], v1, s[10:11] offset:40
	v_mov_b32_e32 v17, s16
	v_mov_b32_e32 v18, s17
	s_waitcnt vmcnt(0)
	v_readfirstlane_b32 s18, v11
	v_readfirstlane_b32 s19, v12
	s_and_b64 s[18:19], s[18:19], s[16:17]
	s_mul_i32 s5, s19, 24
	s_mul_hi_u32 s19, s18, 24
	s_mul_i32 s18, s18, 24
	s_add_i32 s19, s19, s5
	v_add_co_u32 v15, vcc_lo, v27, s18
	v_add_co_ci_u32_e64 v16, null, s19, v28, vcc_lo
	s_mov_b32 s5, exec_lo
	global_store_dwordx2 v[15:16], v[19:20], off
	s_waitcnt_vscnt null, 0x0
	global_atomic_cmpswap_x2 v[13:14], v1, v[17:20], s[10:11] offset:32 glc
	s_waitcnt vmcnt(0)
	v_cmpx_ne_u64_e64 v[13:14], v[19:20]
	s_cbranch_execz .LBB14_95
; %bb.93:                               ;   in Loop: Header=BB14_34 Depth=2
	s_mov_b32 s18, 0
.LBB14_94:                              ;   Parent Loop BB14_4 Depth=1
                                        ;     Parent Loop BB14_34 Depth=2
                                        ; =>    This Inner Loop Header: Depth=3
	v_mov_b32_e32 v11, s16
	v_mov_b32_e32 v12, s17
	s_sleep 1
	global_store_dwordx2 v[15:16], v[13:14], off
	s_waitcnt_vscnt null, 0x0
	global_atomic_cmpswap_x2 v[11:12], v1, v[11:14], s[10:11] offset:32 glc
	s_waitcnt vmcnt(0)
	v_cmp_eq_u64_e32 vcc_lo, v[11:12], v[13:14]
	v_mov_b32_e32 v14, v12
	v_mov_b32_e32 v13, v11
	s_or_b32 s18, vcc_lo, s18
	s_andn2_b32 exec_lo, exec_lo, s18
	s_cbranch_execnz .LBB14_94
.LBB14_95:                              ;   in Loop: Header=BB14_34 Depth=2
	s_or_b32 exec_lo, exec_lo, s5
	global_load_dwordx2 v[11:12], v1, s[10:11] offset:16
	s_mov_b32 s18, exec_lo
	s_mov_b32 s5, exec_lo
	v_mbcnt_lo_u32_b32 v0, s18, 0
	v_cmpx_eq_u32_e32 0, v0
	s_cbranch_execz .LBB14_97
; %bb.96:                               ;   in Loop: Header=BB14_34 Depth=2
	s_bcnt1_i32_b32 s18, s18
	v_mov_b32_e32 v0, s18
	s_waitcnt vmcnt(0)
	global_atomic_add_x2 v[11:12], v[0:1], off offset:8
.LBB14_97:                              ;   in Loop: Header=BB14_34 Depth=2
	s_or_b32 exec_lo, exec_lo, s5
	s_waitcnt vmcnt(0)
	global_load_dwordx2 v[13:14], v[11:12], off offset:16
	s_waitcnt vmcnt(0)
	v_cmp_eq_u64_e32 vcc_lo, 0, v[13:14]
	s_cbranch_vccnz .LBB14_99
; %bb.98:                               ;   in Loop: Header=BB14_34 Depth=2
	global_load_dword v0, v[11:12], off offset:24
	s_waitcnt vmcnt(0)
	v_readfirstlane_b32 s5, v0
	s_waitcnt_vscnt null, 0x0
	global_store_dwordx2 v[13:14], v[0:1], off
	s_and_b32 m0, s5, 0x7fffff
	s_sendmsg sendmsg(MSG_INTERRUPT)
.LBB14_99:                              ;   in Loop: Header=BB14_34 Depth=2
	s_or_b32 exec_lo, exec_lo, s1
	v_add_co_u32 v11, vcc_lo, v29, v32
	v_add_co_ci_u32_e64 v12, null, 0, v30, vcc_lo
	s_branch .LBB14_103
	.p2align	6
.LBB14_100:                             ;   in Loop: Header=BB14_103 Depth=3
	s_or_b32 exec_lo, exec_lo, s1
	v_readfirstlane_b32 s1, v0
	s_cmp_eq_u32 s1, 0
	s_cbranch_scc1 .LBB14_102
; %bb.101:                              ;   in Loop: Header=BB14_103 Depth=3
	s_sleep 1
	s_cbranch_execnz .LBB14_103
	s_branch .LBB14_105
	.p2align	6
.LBB14_102:                             ;   in Loop: Header=BB14_34 Depth=2
	s_branch .LBB14_105
.LBB14_103:                             ;   Parent Loop BB14_4 Depth=1
                                        ;     Parent Loop BB14_34 Depth=2
                                        ; =>    This Inner Loop Header: Depth=3
	v_mov_b32_e32 v0, 1
	s_and_saveexec_b32 s1, s0
	s_cbranch_execz .LBB14_100
; %bb.104:                              ;   in Loop: Header=BB14_103 Depth=3
	global_load_dword v0, v[5:6], off offset:20 glc dlc
	s_waitcnt vmcnt(0)
	buffer_gl1_inv
	buffer_gl0_inv
	v_and_b32_e32 v0, 1, v0
	s_branch .LBB14_100
.LBB14_105:                             ;   in Loop: Header=BB14_34 Depth=2
	global_load_dwordx2 v[11:12], v[11:12], off
	s_and_saveexec_b32 s5, s0
	s_cbranch_execz .LBB14_33
; %bb.106:                              ;   in Loop: Header=BB14_34 Depth=2
	s_clause 0x2
	global_load_dwordx2 v[5:6], v1, s[10:11] offset:40
	global_load_dwordx2 v[17:18], v1, s[10:11] offset:24 glc dlc
	global_load_dwordx2 v[13:14], v1, s[10:11]
	s_waitcnt vmcnt(2)
	v_readfirstlane_b32 s18, v5
	v_readfirstlane_b32 s19, v6
	s_add_u32 s23, s18, 1
	s_addc_u32 s24, s19, 0
	s_add_u32 s0, s23, s16
	s_addc_u32 s1, s24, s17
	s_cmp_eq_u64 s[0:1], 0
	s_cselect_b32 s1, s24, s1
	s_cselect_b32 s0, s23, s0
	v_mov_b32_e32 v16, s1
	s_and_b64 s[16:17], s[0:1], s[18:19]
	v_mov_b32_e32 v15, s0
	s_mul_i32 s17, s17, 24
	s_mul_hi_u32 s18, s16, 24
	s_mul_i32 s16, s16, 24
	s_add_i32 s18, s18, s17
	s_waitcnt vmcnt(0)
	v_add_co_u32 v5, vcc_lo, v13, s16
	v_add_co_ci_u32_e64 v6, null, s18, v14, vcc_lo
	global_store_dwordx2 v[5:6], v[17:18], off
	s_waitcnt_vscnt null, 0x0
	global_atomic_cmpswap_x2 v[15:16], v1, v[15:18], s[10:11] offset:24 glc
	s_waitcnt vmcnt(0)
	v_cmp_ne_u64_e32 vcc_lo, v[15:16], v[17:18]
	s_and_b32 exec_lo, exec_lo, vcc_lo
	s_cbranch_execz .LBB14_33
; %bb.107:                              ;   in Loop: Header=BB14_34 Depth=2
	s_mov_b32 s16, 0
.LBB14_108:                             ;   Parent Loop BB14_4 Depth=1
                                        ;     Parent Loop BB14_34 Depth=2
                                        ; =>    This Inner Loop Header: Depth=3
	v_mov_b32_e32 v13, s0
	v_mov_b32_e32 v14, s1
	s_sleep 1
	global_store_dwordx2 v[5:6], v[15:16], off
	s_waitcnt_vscnt null, 0x0
	global_atomic_cmpswap_x2 v[13:14], v1, v[13:16], s[10:11] offset:24 glc
	s_waitcnt vmcnt(0)
	v_cmp_eq_u64_e32 vcc_lo, v[13:14], v[15:16]
	v_mov_b32_e32 v16, v14
	v_mov_b32_e32 v15, v13
	s_or_b32 s16, vcc_lo, s16
	s_andn2_b32 exec_lo, exec_lo, s16
	s_cbranch_execnz .LBB14_108
	s_branch .LBB14_33
.LBB14_109:                             ;   in Loop: Header=BB14_4 Depth=1
	s_branch .LBB14_138
.LBB14_110:                             ;   in Loop: Header=BB14_4 Depth=1
                                        ; implicit-def: $vgpr11_vgpr12
	s_cbranch_execz .LBB14_138
; %bb.111:                              ;   in Loop: Header=BB14_4 Depth=1
	v_readfirstlane_b32 s0, v31
	v_mov_b32_e32 v5, 0
	v_mov_b32_e32 v6, 0
	v_cmp_eq_u32_e64 s0, s0, v31
	s_and_saveexec_b32 s1, s0
	s_cbranch_execz .LBB14_117
; %bb.112:                              ;   in Loop: Header=BB14_4 Depth=1
	global_load_dwordx2 v[13:14], v1, s[10:11] offset:24 glc dlc
	s_waitcnt vmcnt(0)
	buffer_gl1_inv
	buffer_gl0_inv
	s_clause 0x1
	global_load_dwordx2 v[5:6], v1, s[10:11] offset:40
	global_load_dwordx2 v[11:12], v1, s[10:11]
	s_mov_b32 s5, exec_lo
	s_waitcnt vmcnt(1)
	v_and_b32_e32 v0, v6, v14
	v_and_b32_e32 v5, v5, v13
	v_mul_lo_u32 v0, v0, 24
	v_mul_hi_u32 v6, v5, 24
	v_mul_lo_u32 v5, v5, 24
	v_add_nc_u32_e32 v0, v6, v0
	s_waitcnt vmcnt(0)
	v_add_co_u32 v5, vcc_lo, v11, v5
	v_add_co_ci_u32_e64 v6, null, v12, v0, vcc_lo
	global_load_dwordx2 v[11:12], v[5:6], off glc dlc
	s_waitcnt vmcnt(0)
	global_atomic_cmpswap_x2 v[5:6], v1, v[11:14], s[10:11] offset:24 glc
	s_waitcnt vmcnt(0)
	buffer_gl1_inv
	buffer_gl0_inv
	v_cmpx_ne_u64_e64 v[5:6], v[13:14]
	s_cbranch_execz .LBB14_116
; %bb.113:                              ;   in Loop: Header=BB14_4 Depth=1
	s_mov_b32 s6, 0
	.p2align	6
.LBB14_114:                             ;   Parent Loop BB14_4 Depth=1
                                        ; =>  This Inner Loop Header: Depth=2
	s_sleep 1
	s_clause 0x1
	global_load_dwordx2 v[11:12], v1, s[10:11] offset:40
	global_load_dwordx2 v[15:16], v1, s[10:11]
	v_mov_b32_e32 v14, v6
	v_mov_b32_e32 v13, v5
	s_waitcnt vmcnt(1)
	v_and_b32_e32 v0, v11, v13
	v_and_b32_e32 v7, v12, v14
	s_waitcnt vmcnt(0)
	v_mad_u64_u32 v[5:6], null, v0, 24, v[15:16]
	v_mov_b32_e32 v0, v6
	v_mad_u64_u32 v[6:7], null, v7, 24, v[0:1]
	global_load_dwordx2 v[11:12], v[5:6], off glc dlc
	s_waitcnt vmcnt(0)
	global_atomic_cmpswap_x2 v[5:6], v1, v[11:14], s[10:11] offset:24 glc
	s_waitcnt vmcnt(0)
	buffer_gl1_inv
	buffer_gl0_inv
	v_cmp_eq_u64_e32 vcc_lo, v[5:6], v[13:14]
	s_or_b32 s6, vcc_lo, s6
	s_andn2_b32 exec_lo, exec_lo, s6
	s_cbranch_execnz .LBB14_114
; %bb.115:                              ;   in Loop: Header=BB14_4 Depth=1
	s_or_b32 exec_lo, exec_lo, s6
.LBB14_116:                             ;   in Loop: Header=BB14_4 Depth=1
	s_or_b32 exec_lo, exec_lo, s5
.LBB14_117:                             ;   in Loop: Header=BB14_4 Depth=1
	s_or_b32 exec_lo, exec_lo, s1
	s_clause 0x1
	global_load_dwordx2 v[11:12], v1, s[10:11] offset:40
	global_load_dwordx4 v[13:16], v1, s[10:11]
	v_readfirstlane_b32 s13, v6
	v_readfirstlane_b32 s12, v5
	s_mov_b32 s1, exec_lo
	s_waitcnt vmcnt(1)
	v_readfirstlane_b32 s6, v11
	v_readfirstlane_b32 s7, v12
	s_and_b64 s[6:7], s[6:7], s[12:13]
	s_mul_i32 s5, s7, 24
	s_mul_hi_u32 s14, s6, 24
	s_mul_i32 s15, s6, 24
	s_add_i32 s14, s14, s5
	s_waitcnt vmcnt(0)
	v_add_co_u32 v5, vcc_lo, v13, s15
	v_add_co_ci_u32_e64 v6, null, s14, v14, vcc_lo
	s_and_saveexec_b32 s5, s0
	s_cbranch_execz .LBB14_119
; %bb.118:                              ;   in Loop: Header=BB14_4 Depth=1
	v_mov_b32_e32 v0, s1
	global_store_dwordx4 v[5:6], v[0:3], off offset:8
.LBB14_119:                             ;   in Loop: Header=BB14_4 Depth=1
	s_or_b32 exec_lo, exec_lo, s5
	s_lshl_b64 s[6:7], s[6:7], 12
	s_mov_b32 s5, s4
	v_add_co_u32 v7, vcc_lo, v15, s6
	v_add_co_ci_u32_e64 v15, null, s7, v16, vcc_lo
	s_mov_b32 s7, s4
	s_mov_b32 s6, s4
	v_and_or_b32 v9, 0xffffff1f, v9, 32
	v_mov_b32_e32 v11, v1
	v_mov_b32_e32 v12, v1
	v_readfirstlane_b32 s14, v7
	v_readfirstlane_b32 s15, v15
	v_mov_b32_e32 v19, s7
	v_mov_b32_e32 v18, s6
	;; [unrolled: 1-line block ×4, first 2 shown]
	global_store_dwordx4 v32, v[9:12], s[14:15]
	global_store_dwordx4 v32, v[16:19], s[14:15] offset:16
	global_store_dwordx4 v32, v[16:19], s[14:15] offset:32
	;; [unrolled: 1-line block ×3, first 2 shown]
	s_and_saveexec_b32 s1, s0
	s_cbranch_execz .LBB14_127
; %bb.120:                              ;   in Loop: Header=BB14_4 Depth=1
	s_clause 0x1
	global_load_dwordx2 v[18:19], v1, s[10:11] offset:32 glc dlc
	global_load_dwordx2 v[9:10], v1, s[10:11] offset:40
	v_mov_b32_e32 v16, s12
	v_mov_b32_e32 v17, s13
	s_waitcnt vmcnt(0)
	v_readfirstlane_b32 s6, v9
	v_readfirstlane_b32 s7, v10
	s_and_b64 s[6:7], s[6:7], s[12:13]
	s_mul_i32 s5, s7, 24
	s_mul_hi_u32 s7, s6, 24
	s_mul_i32 s6, s6, 24
	s_add_i32 s7, s7, s5
	v_add_co_u32 v13, vcc_lo, v13, s6
	v_add_co_ci_u32_e64 v14, null, s7, v14, vcc_lo
	s_mov_b32 s5, exec_lo
	global_store_dwordx2 v[13:14], v[18:19], off
	s_waitcnt_vscnt null, 0x0
	global_atomic_cmpswap_x2 v[11:12], v1, v[16:19], s[10:11] offset:32 glc
	s_waitcnt vmcnt(0)
	v_cmpx_ne_u64_e64 v[11:12], v[18:19]
	s_cbranch_execz .LBB14_123
; %bb.121:                              ;   in Loop: Header=BB14_4 Depth=1
	s_mov_b32 s6, 0
.LBB14_122:                             ;   Parent Loop BB14_4 Depth=1
                                        ; =>  This Inner Loop Header: Depth=2
	v_mov_b32_e32 v9, s12
	v_mov_b32_e32 v10, s13
	s_sleep 1
	global_store_dwordx2 v[13:14], v[11:12], off
	s_waitcnt_vscnt null, 0x0
	global_atomic_cmpswap_x2 v[9:10], v1, v[9:12], s[10:11] offset:32 glc
	s_waitcnt vmcnt(0)
	v_cmp_eq_u64_e32 vcc_lo, v[9:10], v[11:12]
	v_mov_b32_e32 v12, v10
	v_mov_b32_e32 v11, v9
	s_or_b32 s6, vcc_lo, s6
	s_andn2_b32 exec_lo, exec_lo, s6
	s_cbranch_execnz .LBB14_122
.LBB14_123:                             ;   in Loop: Header=BB14_4 Depth=1
	s_or_b32 exec_lo, exec_lo, s5
	global_load_dwordx2 v[9:10], v1, s[10:11] offset:16
	s_mov_b32 s6, exec_lo
	s_mov_b32 s5, exec_lo
	v_mbcnt_lo_u32_b32 v0, s6, 0
	v_cmpx_eq_u32_e32 0, v0
	s_cbranch_execz .LBB14_125
; %bb.124:                              ;   in Loop: Header=BB14_4 Depth=1
	s_bcnt1_i32_b32 s6, s6
	v_mov_b32_e32 v0, s6
	s_waitcnt vmcnt(0)
	global_atomic_add_x2 v[9:10], v[0:1], off offset:8
.LBB14_125:                             ;   in Loop: Header=BB14_4 Depth=1
	s_or_b32 exec_lo, exec_lo, s5
	s_waitcnt vmcnt(0)
	global_load_dwordx2 v[11:12], v[9:10], off offset:16
	s_waitcnt vmcnt(0)
	v_cmp_eq_u64_e32 vcc_lo, 0, v[11:12]
	s_cbranch_vccnz .LBB14_127
; %bb.126:                              ;   in Loop: Header=BB14_4 Depth=1
	global_load_dword v0, v[9:10], off offset:24
	s_waitcnt vmcnt(0)
	v_readfirstlane_b32 s5, v0
	s_waitcnt_vscnt null, 0x0
	global_store_dwordx2 v[11:12], v[0:1], off
	s_and_b32 m0, s5, 0x7fffff
	s_sendmsg sendmsg(MSG_INTERRUPT)
.LBB14_127:                             ;   in Loop: Header=BB14_4 Depth=1
	s_or_b32 exec_lo, exec_lo, s1
	v_add_co_u32 v9, vcc_lo, v7, v32
	v_add_co_ci_u32_e64 v10, null, 0, v15, vcc_lo
	s_branch .LBB14_131
	.p2align	6
.LBB14_128:                             ;   in Loop: Header=BB14_131 Depth=2
	s_or_b32 exec_lo, exec_lo, s1
	v_readfirstlane_b32 s1, v0
	s_cmp_eq_u32 s1, 0
	s_cbranch_scc1 .LBB14_130
; %bb.129:                              ;   in Loop: Header=BB14_131 Depth=2
	s_sleep 1
	s_cbranch_execnz .LBB14_131
	s_branch .LBB14_133
	.p2align	6
.LBB14_130:                             ;   in Loop: Header=BB14_4 Depth=1
	s_branch .LBB14_133
.LBB14_131:                             ;   Parent Loop BB14_4 Depth=1
                                        ; =>  This Inner Loop Header: Depth=2
	v_mov_b32_e32 v0, 1
	s_and_saveexec_b32 s1, s0
	s_cbranch_execz .LBB14_128
; %bb.132:                              ;   in Loop: Header=BB14_131 Depth=2
	global_load_dword v0, v[5:6], off offset:20 glc dlc
	s_waitcnt vmcnt(0)
	buffer_gl1_inv
	buffer_gl0_inv
	v_and_b32_e32 v0, 1, v0
	s_branch .LBB14_128
.LBB14_133:                             ;   in Loop: Header=BB14_4 Depth=1
	global_load_dwordx2 v[11:12], v[9:10], off
	s_and_saveexec_b32 s5, s0
	s_cbranch_execz .LBB14_137
; %bb.134:                              ;   in Loop: Header=BB14_4 Depth=1
	s_clause 0x2
	global_load_dwordx2 v[5:6], v1, s[10:11] offset:40
	global_load_dwordx2 v[17:18], v1, s[10:11] offset:24 glc dlc
	global_load_dwordx2 v[9:10], v1, s[10:11]
	s_waitcnt vmcnt(2)
	v_readfirstlane_b32 s6, v5
	v_readfirstlane_b32 s7, v6
	s_add_u32 s14, s6, 1
	s_addc_u32 s15, s7, 0
	s_add_u32 s0, s14, s12
	s_addc_u32 s1, s15, s13
	s_cmp_eq_u64 s[0:1], 0
	s_cselect_b32 s1, s15, s1
	s_cselect_b32 s0, s14, s0
	v_mov_b32_e32 v16, s1
	s_and_b64 s[6:7], s[0:1], s[6:7]
	v_mov_b32_e32 v15, s0
	s_mul_i32 s7, s7, 24
	s_mul_hi_u32 s12, s6, 24
	s_mul_i32 s6, s6, 24
	s_add_i32 s12, s12, s7
	s_waitcnt vmcnt(0)
	v_add_co_u32 v5, vcc_lo, v9, s6
	v_add_co_ci_u32_e64 v6, null, s12, v10, vcc_lo
	global_store_dwordx2 v[5:6], v[17:18], off
	s_waitcnt_vscnt null, 0x0
	global_atomic_cmpswap_x2 v[15:16], v1, v[15:18], s[10:11] offset:24 glc
	s_waitcnt vmcnt(0)
	v_cmp_ne_u64_e32 vcc_lo, v[15:16], v[17:18]
	s_and_b32 exec_lo, exec_lo, vcc_lo
	s_cbranch_execz .LBB14_137
; %bb.135:                              ;   in Loop: Header=BB14_4 Depth=1
	s_mov_b32 s6, 0
.LBB14_136:                             ;   Parent Loop BB14_4 Depth=1
                                        ; =>  This Inner Loop Header: Depth=2
	v_mov_b32_e32 v13, s0
	v_mov_b32_e32 v14, s1
	s_sleep 1
	global_store_dwordx2 v[5:6], v[15:16], off
	s_waitcnt_vscnt null, 0x0
	global_atomic_cmpswap_x2 v[9:10], v1, v[13:16], s[10:11] offset:24 glc
	s_waitcnt vmcnt(0)
	v_cmp_eq_u64_e32 vcc_lo, v[9:10], v[15:16]
	v_mov_b32_e32 v16, v10
	v_mov_b32_e32 v15, v9
	s_or_b32 s6, vcc_lo, s6
	s_andn2_b32 exec_lo, exec_lo, s6
	s_cbranch_execnz .LBB14_136
.LBB14_137:                             ;   in Loop: Header=BB14_4 Depth=1
	s_or_b32 exec_lo, exec_lo, s5
.LBB14_138:                             ;   in Loop: Header=BB14_4 Depth=1
	v_readfirstlane_b32 s0, v31
	v_mov_b32_e32 v5, 0
	v_mov_b32_e32 v6, 0
	v_cmp_eq_u32_e64 s0, s0, v31
	s_and_saveexec_b32 s1, s0
	s_cbranch_execz .LBB14_144
; %bb.139:                              ;   in Loop: Header=BB14_4 Depth=1
	global_load_dwordx2 v[15:16], v1, s[10:11] offset:24 glc dlc
	s_waitcnt vmcnt(0)
	buffer_gl1_inv
	buffer_gl0_inv
	s_clause 0x1
	global_load_dwordx2 v[5:6], v1, s[10:11] offset:40
	global_load_dwordx2 v[9:10], v1, s[10:11]
	s_mov_b32 s5, exec_lo
	s_waitcnt vmcnt(1)
	v_and_b32_e32 v0, v6, v16
	v_and_b32_e32 v5, v5, v15
	v_mul_lo_u32 v0, v0, 24
	v_mul_hi_u32 v6, v5, 24
	v_mul_lo_u32 v5, v5, 24
	v_add_nc_u32_e32 v0, v6, v0
	s_waitcnt vmcnt(0)
	v_add_co_u32 v5, vcc_lo, v9, v5
	v_add_co_ci_u32_e64 v6, null, v10, v0, vcc_lo
	global_load_dwordx2 v[13:14], v[5:6], off glc dlc
	s_waitcnt vmcnt(0)
	global_atomic_cmpswap_x2 v[5:6], v1, v[13:16], s[10:11] offset:24 glc
	s_waitcnt vmcnt(0)
	buffer_gl1_inv
	buffer_gl0_inv
	v_cmpx_ne_u64_e64 v[5:6], v[15:16]
	s_cbranch_execz .LBB14_143
; %bb.140:                              ;   in Loop: Header=BB14_4 Depth=1
	s_mov_b32 s6, 0
	.p2align	6
.LBB14_141:                             ;   Parent Loop BB14_4 Depth=1
                                        ; =>  This Inner Loop Header: Depth=2
	s_sleep 1
	s_clause 0x1
	global_load_dwordx2 v[9:10], v1, s[10:11] offset:40
	global_load_dwordx2 v[13:14], v1, s[10:11]
	v_mov_b32_e32 v16, v6
	v_mov_b32_e32 v15, v5
	s_waitcnt vmcnt(1)
	v_and_b32_e32 v0, v9, v15
	v_and_b32_e32 v7, v10, v16
	s_waitcnt vmcnt(0)
	v_mad_u64_u32 v[5:6], null, v0, 24, v[13:14]
	v_mov_b32_e32 v0, v6
	v_mad_u64_u32 v[6:7], null, v7, 24, v[0:1]
	global_load_dwordx2 v[13:14], v[5:6], off glc dlc
	s_waitcnt vmcnt(0)
	global_atomic_cmpswap_x2 v[5:6], v1, v[13:16], s[10:11] offset:24 glc
	s_waitcnt vmcnt(0)
	buffer_gl1_inv
	buffer_gl0_inv
	v_cmp_eq_u64_e32 vcc_lo, v[5:6], v[15:16]
	s_or_b32 s6, vcc_lo, s6
	s_andn2_b32 exec_lo, exec_lo, s6
	s_cbranch_execnz .LBB14_141
; %bb.142:                              ;   in Loop: Header=BB14_4 Depth=1
	s_or_b32 exec_lo, exec_lo, s6
.LBB14_143:                             ;   in Loop: Header=BB14_4 Depth=1
	s_or_b32 exec_lo, exec_lo, s5
.LBB14_144:                             ;   in Loop: Header=BB14_4 Depth=1
	s_or_b32 exec_lo, exec_lo, s1
	s_clause 0x1
	global_load_dwordx2 v[9:10], v1, s[10:11] offset:40
	global_load_dwordx4 v[15:18], v1, s[10:11]
	v_readfirstlane_b32 s13, v6
	v_readfirstlane_b32 s12, v5
	s_mov_b32 s1, exec_lo
	s_waitcnt vmcnt(1)
	v_readfirstlane_b32 s6, v9
	v_readfirstlane_b32 s7, v10
	s_and_b64 s[6:7], s[6:7], s[12:13]
	s_mul_i32 s5, s7, 24
	s_mul_hi_u32 s14, s6, 24
	s_mul_i32 s15, s6, 24
	s_add_i32 s14, s14, s5
	s_waitcnt vmcnt(0)
	v_add_co_u32 v5, vcc_lo, v15, s15
	v_add_co_ci_u32_e64 v6, null, s14, v16, vcc_lo
	s_and_saveexec_b32 s5, s0
	s_cbranch_execz .LBB14_146
; %bb.145:                              ;   in Loop: Header=BB14_4 Depth=1
	v_mov_b32_e32 v0, s1
	global_store_dwordx4 v[5:6], v[0:3], off offset:8
.LBB14_146:                             ;   in Loop: Header=BB14_4 Depth=1
	s_or_b32 exec_lo, exec_lo, s5
	s_lshl_b64 s[6:7], s[6:7], 12
	s_mov_b32 s5, s4
	v_add_co_u32 v7, vcc_lo, v17, s6
	v_add_co_ci_u32_e64 v17, null, s7, v18, vcc_lo
	s_mov_b32 s7, s4
	s_mov_b32 s6, s4
	v_and_or_b32 v11, 0xffffff1f, v11, 32
	v_mov_b32_e32 v13, s21
	v_mov_b32_e32 v14, v1
	v_readfirstlane_b32 s14, v7
	v_readfirstlane_b32 s15, v17
	v_mov_b32_e32 v21, s7
	v_mov_b32_e32 v20, s6
	v_mov_b32_e32 v19, s5
	v_mov_b32_e32 v18, s4
	global_store_dwordx4 v32, v[11:14], s[14:15]
	global_store_dwordx4 v32, v[18:21], s[14:15] offset:16
	global_store_dwordx4 v32, v[18:21], s[14:15] offset:32
	;; [unrolled: 1-line block ×3, first 2 shown]
	s_and_saveexec_b32 s1, s0
	s_cbranch_execz .LBB14_154
; %bb.147:                              ;   in Loop: Header=BB14_4 Depth=1
	s_clause 0x1
	global_load_dwordx2 v[20:21], v1, s[10:11] offset:32 glc dlc
	global_load_dwordx2 v[9:10], v1, s[10:11] offset:40
	v_mov_b32_e32 v18, s12
	v_mov_b32_e32 v19, s13
	s_waitcnt vmcnt(0)
	v_readfirstlane_b32 s6, v9
	v_readfirstlane_b32 s7, v10
	s_and_b64 s[6:7], s[6:7], s[12:13]
	s_mul_i32 s5, s7, 24
	s_mul_hi_u32 s7, s6, 24
	s_mul_i32 s6, s6, 24
	s_add_i32 s7, s7, s5
	v_add_co_u32 v13, vcc_lo, v15, s6
	v_add_co_ci_u32_e64 v14, null, s7, v16, vcc_lo
	s_mov_b32 s5, exec_lo
	global_store_dwordx2 v[13:14], v[20:21], off
	s_waitcnt_vscnt null, 0x0
	global_atomic_cmpswap_x2 v[11:12], v1, v[18:21], s[10:11] offset:32 glc
	s_waitcnt vmcnt(0)
	v_cmpx_ne_u64_e64 v[11:12], v[20:21]
	s_cbranch_execz .LBB14_150
; %bb.148:                              ;   in Loop: Header=BB14_4 Depth=1
	s_mov_b32 s6, 0
.LBB14_149:                             ;   Parent Loop BB14_4 Depth=1
                                        ; =>  This Inner Loop Header: Depth=2
	v_mov_b32_e32 v9, s12
	v_mov_b32_e32 v10, s13
	s_sleep 1
	global_store_dwordx2 v[13:14], v[11:12], off
	s_waitcnt_vscnt null, 0x0
	global_atomic_cmpswap_x2 v[9:10], v1, v[9:12], s[10:11] offset:32 glc
	s_waitcnt vmcnt(0)
	v_cmp_eq_u64_e32 vcc_lo, v[9:10], v[11:12]
	v_mov_b32_e32 v12, v10
	v_mov_b32_e32 v11, v9
	s_or_b32 s6, vcc_lo, s6
	s_andn2_b32 exec_lo, exec_lo, s6
	s_cbranch_execnz .LBB14_149
.LBB14_150:                             ;   in Loop: Header=BB14_4 Depth=1
	s_or_b32 exec_lo, exec_lo, s5
	global_load_dwordx2 v[9:10], v1, s[10:11] offset:16
	s_mov_b32 s6, exec_lo
	s_mov_b32 s5, exec_lo
	v_mbcnt_lo_u32_b32 v0, s6, 0
	v_cmpx_eq_u32_e32 0, v0
	s_cbranch_execz .LBB14_152
; %bb.151:                              ;   in Loop: Header=BB14_4 Depth=1
	s_bcnt1_i32_b32 s6, s6
	v_mov_b32_e32 v0, s6
	s_waitcnt vmcnt(0)
	global_atomic_add_x2 v[9:10], v[0:1], off offset:8
.LBB14_152:                             ;   in Loop: Header=BB14_4 Depth=1
	s_or_b32 exec_lo, exec_lo, s5
	s_waitcnt vmcnt(0)
	global_load_dwordx2 v[11:12], v[9:10], off offset:16
	s_waitcnt vmcnt(0)
	v_cmp_eq_u64_e32 vcc_lo, 0, v[11:12]
	s_cbranch_vccnz .LBB14_154
; %bb.153:                              ;   in Loop: Header=BB14_4 Depth=1
	global_load_dword v0, v[9:10], off offset:24
	s_waitcnt vmcnt(0)
	v_readfirstlane_b32 s5, v0
	s_waitcnt_vscnt null, 0x0
	global_store_dwordx2 v[11:12], v[0:1], off
	s_and_b32 m0, s5, 0x7fffff
	s_sendmsg sendmsg(MSG_INTERRUPT)
.LBB14_154:                             ;   in Loop: Header=BB14_4 Depth=1
	s_or_b32 exec_lo, exec_lo, s1
	v_add_co_u32 v9, vcc_lo, v7, v32
	v_add_co_ci_u32_e64 v10, null, 0, v17, vcc_lo
	s_branch .LBB14_158
	.p2align	6
.LBB14_155:                             ;   in Loop: Header=BB14_158 Depth=2
	s_or_b32 exec_lo, exec_lo, s1
	v_readfirstlane_b32 s1, v0
	s_cmp_eq_u32 s1, 0
	s_cbranch_scc1 .LBB14_157
; %bb.156:                              ;   in Loop: Header=BB14_158 Depth=2
	s_sleep 1
	s_cbranch_execnz .LBB14_158
	s_branch .LBB14_160
	.p2align	6
.LBB14_157:                             ;   in Loop: Header=BB14_4 Depth=1
	s_branch .LBB14_160
.LBB14_158:                             ;   Parent Loop BB14_4 Depth=1
                                        ; =>  This Inner Loop Header: Depth=2
	v_mov_b32_e32 v0, 1
	s_and_saveexec_b32 s1, s0
	s_cbranch_execz .LBB14_155
; %bb.159:                              ;   in Loop: Header=BB14_158 Depth=2
	global_load_dword v0, v[5:6], off offset:20 glc dlc
	s_waitcnt vmcnt(0)
	buffer_gl1_inv
	buffer_gl0_inv
	v_and_b32_e32 v0, 1, v0
	s_branch .LBB14_155
.LBB14_160:                             ;   in Loop: Header=BB14_4 Depth=1
	global_load_dwordx2 v[9:10], v[9:10], off
	s_and_saveexec_b32 s5, s0
	s_cbranch_execz .LBB14_164
; %bb.161:                              ;   in Loop: Header=BB14_4 Depth=1
	s_clause 0x2
	global_load_dwordx2 v[5:6], v1, s[10:11] offset:40
	global_load_dwordx2 v[15:16], v1, s[10:11] offset:24 glc dlc
	global_load_dwordx2 v[11:12], v1, s[10:11]
	s_waitcnt vmcnt(2)
	v_readfirstlane_b32 s6, v5
	v_readfirstlane_b32 s7, v6
	s_add_u32 s14, s6, 1
	s_addc_u32 s15, s7, 0
	s_add_u32 s0, s14, s12
	s_addc_u32 s1, s15, s13
	s_cmp_eq_u64 s[0:1], 0
	s_cselect_b32 s1, s15, s1
	s_cselect_b32 s0, s14, s0
	v_mov_b32_e32 v14, s1
	s_and_b64 s[6:7], s[0:1], s[6:7]
	v_mov_b32_e32 v13, s0
	s_mul_i32 s7, s7, 24
	s_mul_hi_u32 s12, s6, 24
	s_mul_i32 s6, s6, 24
	s_add_i32 s12, s12, s7
	s_waitcnt vmcnt(0)
	v_add_co_u32 v5, vcc_lo, v11, s6
	v_add_co_ci_u32_e64 v6, null, s12, v12, vcc_lo
	global_store_dwordx2 v[5:6], v[15:16], off
	s_waitcnt_vscnt null, 0x0
	global_atomic_cmpswap_x2 v[13:14], v1, v[13:16], s[10:11] offset:24 glc
	s_waitcnt vmcnt(0)
	v_cmp_ne_u64_e32 vcc_lo, v[13:14], v[15:16]
	s_and_b32 exec_lo, exec_lo, vcc_lo
	s_cbranch_execz .LBB14_164
; %bb.162:                              ;   in Loop: Header=BB14_4 Depth=1
	s_mov_b32 s6, 0
.LBB14_163:                             ;   Parent Loop BB14_4 Depth=1
                                        ; =>  This Inner Loop Header: Depth=2
	v_mov_b32_e32 v11, s0
	v_mov_b32_e32 v12, s1
	s_sleep 1
	global_store_dwordx2 v[5:6], v[13:14], off
	s_waitcnt_vscnt null, 0x0
	global_atomic_cmpswap_x2 v[11:12], v1, v[11:14], s[10:11] offset:24 glc
	s_waitcnt vmcnt(0)
	v_cmp_eq_u64_e32 vcc_lo, v[11:12], v[13:14]
	v_mov_b32_e32 v14, v12
	v_mov_b32_e32 v13, v11
	s_or_b32 s6, vcc_lo, s6
	s_andn2_b32 exec_lo, exec_lo, s6
	s_cbranch_execnz .LBB14_163
.LBB14_164:                             ;   in Loop: Header=BB14_4 Depth=1
	s_or_b32 exec_lo, exec_lo, s5
	v_readfirstlane_b32 s0, v31
	v_mov_b32_e32 v5, 0
	v_mov_b32_e32 v6, 0
	v_cmp_eq_u32_e64 s0, s0, v31
	s_and_saveexec_b32 s1, s0
	s_cbranch_execz .LBB14_170
; %bb.165:                              ;   in Loop: Header=BB14_4 Depth=1
	global_load_dwordx2 v[13:14], v1, s[10:11] offset:24 glc dlc
	s_waitcnt vmcnt(0)
	buffer_gl1_inv
	buffer_gl0_inv
	s_clause 0x1
	global_load_dwordx2 v[5:6], v1, s[10:11] offset:40
	global_load_dwordx2 v[11:12], v1, s[10:11]
	s_mov_b32 s5, exec_lo
	s_waitcnt vmcnt(1)
	v_and_b32_e32 v0, v6, v14
	v_and_b32_e32 v5, v5, v13
	v_mul_lo_u32 v0, v0, 24
	v_mul_hi_u32 v6, v5, 24
	v_mul_lo_u32 v5, v5, 24
	v_add_nc_u32_e32 v0, v6, v0
	s_waitcnt vmcnt(0)
	v_add_co_u32 v5, vcc_lo, v11, v5
	v_add_co_ci_u32_e64 v6, null, v12, v0, vcc_lo
	global_load_dwordx2 v[11:12], v[5:6], off glc dlc
	s_waitcnt vmcnt(0)
	global_atomic_cmpswap_x2 v[5:6], v1, v[11:14], s[10:11] offset:24 glc
	s_waitcnt vmcnt(0)
	buffer_gl1_inv
	buffer_gl0_inv
	v_cmpx_ne_u64_e64 v[5:6], v[13:14]
	s_cbranch_execz .LBB14_169
; %bb.166:                              ;   in Loop: Header=BB14_4 Depth=1
	s_mov_b32 s6, 0
	.p2align	6
.LBB14_167:                             ;   Parent Loop BB14_4 Depth=1
                                        ; =>  This Inner Loop Header: Depth=2
	s_sleep 1
	s_clause 0x1
	global_load_dwordx2 v[11:12], v1, s[10:11] offset:40
	global_load_dwordx2 v[15:16], v1, s[10:11]
	v_mov_b32_e32 v14, v6
	v_mov_b32_e32 v13, v5
	s_waitcnt vmcnt(1)
	v_and_b32_e32 v0, v11, v13
	v_and_b32_e32 v7, v12, v14
	s_waitcnt vmcnt(0)
	v_mad_u64_u32 v[5:6], null, v0, 24, v[15:16]
	v_mov_b32_e32 v0, v6
	v_mad_u64_u32 v[6:7], null, v7, 24, v[0:1]
	global_load_dwordx2 v[11:12], v[5:6], off glc dlc
	s_waitcnt vmcnt(0)
	global_atomic_cmpswap_x2 v[5:6], v1, v[11:14], s[10:11] offset:24 glc
	s_waitcnt vmcnt(0)
	buffer_gl1_inv
	buffer_gl0_inv
	v_cmp_eq_u64_e32 vcc_lo, v[5:6], v[13:14]
	s_or_b32 s6, vcc_lo, s6
	s_andn2_b32 exec_lo, exec_lo, s6
	s_cbranch_execnz .LBB14_167
; %bb.168:                              ;   in Loop: Header=BB14_4 Depth=1
	s_or_b32 exec_lo, exec_lo, s6
.LBB14_169:                             ;   in Loop: Header=BB14_4 Depth=1
	s_or_b32 exec_lo, exec_lo, s5
.LBB14_170:                             ;   in Loop: Header=BB14_4 Depth=1
	s_or_b32 exec_lo, exec_lo, s1
	s_clause 0x1
	global_load_dwordx2 v[11:12], v1, s[10:11] offset:40
	global_load_dwordx4 v[13:16], v1, s[10:11]
	v_readfirstlane_b32 s13, v6
	v_readfirstlane_b32 s12, v5
	s_mov_b32 s1, exec_lo
	s_waitcnt vmcnt(1)
	v_readfirstlane_b32 s6, v11
	v_readfirstlane_b32 s7, v12
	s_and_b64 s[6:7], s[6:7], s[12:13]
	s_mul_i32 s5, s7, 24
	s_mul_hi_u32 s14, s6, 24
	s_mul_i32 s15, s6, 24
	s_add_i32 s14, s14, s5
	s_waitcnt vmcnt(0)
	v_add_co_u32 v5, vcc_lo, v13, s15
	v_add_co_ci_u32_e64 v6, null, s14, v14, vcc_lo
	s_and_saveexec_b32 s5, s0
	s_cbranch_execz .LBB14_172
; %bb.171:                              ;   in Loop: Header=BB14_4 Depth=1
	v_mov_b32_e32 v0, s1
	global_store_dwordx4 v[5:6], v[0:3], off offset:8
.LBB14_172:                             ;   in Loop: Header=BB14_4 Depth=1
	s_or_b32 exec_lo, exec_lo, s5
	s_lshl_b64 s[6:7], s[6:7], 12
	s_mov_b32 s5, s4
	v_add_co_u32 v7, vcc_lo, v15, s6
	v_add_co_ci_u32_e64 v15, null, s7, v16, vcc_lo
	s_mov_b32 s7, s4
	s_mov_b32 s6, s4
	v_and_b32_e32 v11, 0xffff, v33
	v_and_or_b32 v9, 0xffffff1f, v9, 32
	v_mov_b32_e32 v12, v1
	v_readfirstlane_b32 s14, v7
	v_readfirstlane_b32 s15, v15
	v_mov_b32_e32 v19, s7
	v_mov_b32_e32 v18, s6
	;; [unrolled: 1-line block ×4, first 2 shown]
	global_store_dwordx4 v32, v[9:12], s[14:15]
	global_store_dwordx4 v32, v[16:19], s[14:15] offset:16
	global_store_dwordx4 v32, v[16:19], s[14:15] offset:32
	;; [unrolled: 1-line block ×3, first 2 shown]
	s_and_saveexec_b32 s1, s0
	s_cbranch_execz .LBB14_180
; %bb.173:                              ;   in Loop: Header=BB14_4 Depth=1
	s_clause 0x1
	global_load_dwordx2 v[18:19], v1, s[10:11] offset:32 glc dlc
	global_load_dwordx2 v[9:10], v1, s[10:11] offset:40
	v_mov_b32_e32 v16, s12
	v_mov_b32_e32 v17, s13
	s_waitcnt vmcnt(0)
	v_readfirstlane_b32 s6, v9
	v_readfirstlane_b32 s7, v10
	s_and_b64 s[6:7], s[6:7], s[12:13]
	s_mul_i32 s5, s7, 24
	s_mul_hi_u32 s7, s6, 24
	s_mul_i32 s6, s6, 24
	s_add_i32 s7, s7, s5
	v_add_co_u32 v13, vcc_lo, v13, s6
	v_add_co_ci_u32_e64 v14, null, s7, v14, vcc_lo
	s_mov_b32 s5, exec_lo
	global_store_dwordx2 v[13:14], v[18:19], off
	s_waitcnt_vscnt null, 0x0
	global_atomic_cmpswap_x2 v[11:12], v1, v[16:19], s[10:11] offset:32 glc
	s_waitcnt vmcnt(0)
	v_cmpx_ne_u64_e64 v[11:12], v[18:19]
	s_cbranch_execz .LBB14_176
; %bb.174:                              ;   in Loop: Header=BB14_4 Depth=1
	s_mov_b32 s6, 0
.LBB14_175:                             ;   Parent Loop BB14_4 Depth=1
                                        ; =>  This Inner Loop Header: Depth=2
	v_mov_b32_e32 v9, s12
	v_mov_b32_e32 v10, s13
	s_sleep 1
	global_store_dwordx2 v[13:14], v[11:12], off
	s_waitcnt_vscnt null, 0x0
	global_atomic_cmpswap_x2 v[9:10], v1, v[9:12], s[10:11] offset:32 glc
	s_waitcnt vmcnt(0)
	v_cmp_eq_u64_e32 vcc_lo, v[9:10], v[11:12]
	v_mov_b32_e32 v12, v10
	v_mov_b32_e32 v11, v9
	s_or_b32 s6, vcc_lo, s6
	s_andn2_b32 exec_lo, exec_lo, s6
	s_cbranch_execnz .LBB14_175
.LBB14_176:                             ;   in Loop: Header=BB14_4 Depth=1
	s_or_b32 exec_lo, exec_lo, s5
	global_load_dwordx2 v[9:10], v1, s[10:11] offset:16
	s_mov_b32 s6, exec_lo
	s_mov_b32 s5, exec_lo
	v_mbcnt_lo_u32_b32 v0, s6, 0
	v_cmpx_eq_u32_e32 0, v0
	s_cbranch_execz .LBB14_178
; %bb.177:                              ;   in Loop: Header=BB14_4 Depth=1
	s_bcnt1_i32_b32 s6, s6
	v_mov_b32_e32 v0, s6
	s_waitcnt vmcnt(0)
	global_atomic_add_x2 v[9:10], v[0:1], off offset:8
.LBB14_178:                             ;   in Loop: Header=BB14_4 Depth=1
	s_or_b32 exec_lo, exec_lo, s5
	s_waitcnt vmcnt(0)
	global_load_dwordx2 v[11:12], v[9:10], off offset:16
	s_waitcnt vmcnt(0)
	v_cmp_eq_u64_e32 vcc_lo, 0, v[11:12]
	s_cbranch_vccnz .LBB14_180
; %bb.179:                              ;   in Loop: Header=BB14_4 Depth=1
	global_load_dword v0, v[9:10], off offset:24
	s_waitcnt vmcnt(0)
	v_readfirstlane_b32 s5, v0
	s_waitcnt_vscnt null, 0x0
	global_store_dwordx2 v[11:12], v[0:1], off
	s_and_b32 m0, s5, 0x7fffff
	s_sendmsg sendmsg(MSG_INTERRUPT)
.LBB14_180:                             ;   in Loop: Header=BB14_4 Depth=1
	s_or_b32 exec_lo, exec_lo, s1
	v_add_co_u32 v9, vcc_lo, v7, v32
	v_add_co_ci_u32_e64 v10, null, 0, v15, vcc_lo
	s_branch .LBB14_184
	.p2align	6
.LBB14_181:                             ;   in Loop: Header=BB14_184 Depth=2
	s_or_b32 exec_lo, exec_lo, s1
	v_readfirstlane_b32 s1, v0
	s_cmp_eq_u32 s1, 0
	s_cbranch_scc1 .LBB14_183
; %bb.182:                              ;   in Loop: Header=BB14_184 Depth=2
	s_sleep 1
	s_cbranch_execnz .LBB14_184
	s_branch .LBB14_186
	.p2align	6
.LBB14_183:                             ;   in Loop: Header=BB14_4 Depth=1
	s_branch .LBB14_186
.LBB14_184:                             ;   Parent Loop BB14_4 Depth=1
                                        ; =>  This Inner Loop Header: Depth=2
	v_mov_b32_e32 v0, 1
	s_and_saveexec_b32 s1, s0
	s_cbranch_execz .LBB14_181
; %bb.185:                              ;   in Loop: Header=BB14_184 Depth=2
	global_load_dword v0, v[5:6], off offset:20 glc dlc
	s_waitcnt vmcnt(0)
	buffer_gl1_inv
	buffer_gl0_inv
	v_and_b32_e32 v0, 1, v0
	s_branch .LBB14_181
.LBB14_186:                             ;   in Loop: Header=BB14_4 Depth=1
	global_load_dwordx2 v[6:7], v[9:10], off
	s_and_saveexec_b32 s5, s0
	s_cbranch_execz .LBB14_190
; %bb.187:                              ;   in Loop: Header=BB14_4 Depth=1
	s_clause 0x2
	global_load_dwordx2 v[9:10], v1, s[10:11] offset:40
	global_load_dwordx2 v[17:18], v1, s[10:11] offset:24 glc dlc
	global_load_dwordx2 v[11:12], v1, s[10:11]
	s_waitcnt vmcnt(2)
	v_readfirstlane_b32 s6, v9
	v_readfirstlane_b32 s7, v10
	s_add_u32 s14, s6, 1
	s_addc_u32 s15, s7, 0
	s_add_u32 s0, s14, s12
	s_addc_u32 s1, s15, s13
	s_cmp_eq_u64 s[0:1], 0
	s_cselect_b32 s1, s15, s1
	s_cselect_b32 s0, s14, s0
	v_mov_b32_e32 v16, s1
	s_and_b64 s[6:7], s[0:1], s[6:7]
	v_mov_b32_e32 v15, s0
	s_mul_i32 s7, s7, 24
	s_mul_hi_u32 s12, s6, 24
	s_mul_i32 s6, s6, 24
	s_add_i32 s12, s12, s7
	s_waitcnt vmcnt(0)
	v_add_co_u32 v13, vcc_lo, v11, s6
	v_add_co_ci_u32_e64 v14, null, s12, v12, vcc_lo
	global_store_dwordx2 v[13:14], v[17:18], off
	s_waitcnt_vscnt null, 0x0
	global_atomic_cmpswap_x2 v[11:12], v1, v[15:18], s[10:11] offset:24 glc
	s_waitcnt vmcnt(0)
	v_cmp_ne_u64_e32 vcc_lo, v[11:12], v[17:18]
	s_and_b32 exec_lo, exec_lo, vcc_lo
	s_cbranch_execz .LBB14_190
; %bb.188:                              ;   in Loop: Header=BB14_4 Depth=1
	s_mov_b32 s6, 0
.LBB14_189:                             ;   Parent Loop BB14_4 Depth=1
                                        ; =>  This Inner Loop Header: Depth=2
	v_mov_b32_e32 v9, s0
	v_mov_b32_e32 v10, s1
	s_sleep 1
	global_store_dwordx2 v[13:14], v[11:12], off
	s_waitcnt_vscnt null, 0x0
	global_atomic_cmpswap_x2 v[9:10], v1, v[9:12], s[10:11] offset:24 glc
	s_waitcnt vmcnt(0)
	v_cmp_eq_u64_e32 vcc_lo, v[9:10], v[11:12]
	v_mov_b32_e32 v12, v10
	v_mov_b32_e32 v11, v9
	s_or_b32 s6, vcc_lo, s6
	s_andn2_b32 exec_lo, exec_lo, s6
	s_cbranch_execnz .LBB14_189
.LBB14_190:                             ;   in Loop: Header=BB14_4 Depth=1
	s_or_b32 exec_lo, exec_lo, s5
	v_readfirstlane_b32 s0, v31
	v_mov_b32_e32 v14, 0
	v_mov_b32_e32 v15, 0
	v_cmp_eq_u32_e64 s0, s0, v31
	s_and_saveexec_b32 s1, s0
	s_cbranch_execz .LBB14_196
; %bb.191:                              ;   in Loop: Header=BB14_4 Depth=1
	global_load_dwordx2 v[11:12], v1, s[10:11] offset:24 glc dlc
	s_waitcnt vmcnt(0)
	buffer_gl1_inv
	buffer_gl0_inv
	s_clause 0x1
	global_load_dwordx2 v[9:10], v1, s[10:11] offset:40
	global_load_dwordx2 v[13:14], v1, s[10:11]
	s_mov_b32 s5, exec_lo
	s_waitcnt vmcnt(1)
	v_and_b32_e32 v0, v10, v12
	v_and_b32_e32 v5, v9, v11
	v_mul_lo_u32 v0, v0, 24
	v_mul_hi_u32 v9, v5, 24
	v_mul_lo_u32 v5, v5, 24
	v_add_nc_u32_e32 v0, v9, v0
	s_waitcnt vmcnt(0)
	v_add_co_u32 v9, vcc_lo, v13, v5
	v_add_co_ci_u32_e64 v10, null, v14, v0, vcc_lo
	global_load_dwordx2 v[9:10], v[9:10], off glc dlc
	s_waitcnt vmcnt(0)
	global_atomic_cmpswap_x2 v[14:15], v1, v[9:12], s[10:11] offset:24 glc
	s_waitcnt vmcnt(0)
	buffer_gl1_inv
	buffer_gl0_inv
	v_cmpx_ne_u64_e64 v[14:15], v[11:12]
	s_cbranch_execz .LBB14_195
; %bb.192:                              ;   in Loop: Header=BB14_4 Depth=1
	s_mov_b32 s6, 0
	.p2align	6
.LBB14_193:                             ;   Parent Loop BB14_4 Depth=1
                                        ; =>  This Inner Loop Header: Depth=2
	s_sleep 1
	s_clause 0x1
	global_load_dwordx2 v[9:10], v1, s[10:11] offset:40
	global_load_dwordx2 v[16:17], v1, s[10:11]
	v_mov_b32_e32 v11, v14
	v_mov_b32_e32 v12, v15
	s_waitcnt vmcnt(1)
	v_and_b32_e32 v0, v9, v11
	v_and_b32_e32 v5, v10, v12
	s_waitcnt vmcnt(0)
	v_mad_u64_u32 v[13:14], null, v0, 24, v[16:17]
	v_mov_b32_e32 v0, v14
	v_mad_u64_u32 v[9:10], null, v5, 24, v[0:1]
	v_mov_b32_e32 v14, v9
	global_load_dwordx2 v[9:10], v[13:14], off glc dlc
	s_waitcnt vmcnt(0)
	global_atomic_cmpswap_x2 v[14:15], v1, v[9:12], s[10:11] offset:24 glc
	s_waitcnt vmcnt(0)
	buffer_gl1_inv
	buffer_gl0_inv
	v_cmp_eq_u64_e32 vcc_lo, v[14:15], v[11:12]
	s_or_b32 s6, vcc_lo, s6
	s_andn2_b32 exec_lo, exec_lo, s6
	s_cbranch_execnz .LBB14_193
; %bb.194:                              ;   in Loop: Header=BB14_4 Depth=1
	s_or_b32 exec_lo, exec_lo, s6
.LBB14_195:                             ;   in Loop: Header=BB14_4 Depth=1
	s_or_b32 exec_lo, exec_lo, s5
.LBB14_196:                             ;   in Loop: Header=BB14_4 Depth=1
	s_or_b32 exec_lo, exec_lo, s1
	s_clause 0x1
	global_load_dwordx2 v[16:17], v1, s[10:11] offset:40
	global_load_dwordx4 v[10:13], v1, s[10:11]
	v_readfirstlane_b32 s13, v15
	v_readfirstlane_b32 s12, v14
	s_mov_b32 s1, exec_lo
	s_waitcnt vmcnt(1)
	v_readfirstlane_b32 s6, v16
	v_readfirstlane_b32 s7, v17
	s_and_b64 s[6:7], s[6:7], s[12:13]
	s_mul_i32 s5, s7, 24
	s_mul_hi_u32 s14, s6, 24
	s_mul_i32 s15, s6, 24
	s_add_i32 s14, s14, s5
	s_waitcnt vmcnt(0)
	v_add_co_u32 v14, vcc_lo, v10, s15
	v_add_co_ci_u32_e64 v15, null, s14, v11, vcc_lo
	s_and_saveexec_b32 s5, s0
	s_cbranch_execz .LBB14_198
; %bb.197:                              ;   in Loop: Header=BB14_4 Depth=1
	v_mov_b32_e32 v0, s1
	global_store_dwordx4 v[14:15], v[0:3], off offset:8
.LBB14_198:                             ;   in Loop: Header=BB14_4 Depth=1
	s_or_b32 exec_lo, exec_lo, s5
	s_lshl_b64 s[6:7], s[6:7], 12
	s_mov_b32 s5, s4
	v_add_co_u32 v0, vcc_lo, v12, s6
	v_add_co_ci_u32_e64 v5, null, s7, v13, vcc_lo
	s_mov_b32 s7, s4
	s_mov_b32 s6, s4
	v_and_or_b32 v6, 0xffffff1d, v6, 34
	v_mov_b32_e32 v9, v1
	v_readfirstlane_b32 s14, v0
	v_readfirstlane_b32 s15, v5
	v_mov_b32_e32 v19, s7
	v_mov_b32_e32 v18, s6
	;; [unrolled: 1-line block ×4, first 2 shown]
	global_store_dwordx4 v32, v[6:9], s[14:15]
	global_store_dwordx4 v32, v[16:19], s[14:15] offset:16
	global_store_dwordx4 v32, v[16:19], s[14:15] offset:32
	;; [unrolled: 1-line block ×3, first 2 shown]
	s_and_saveexec_b32 s1, s0
	s_cbranch_execz .LBB14_206
; %bb.199:                              ;   in Loop: Header=BB14_4 Depth=1
	s_clause 0x1
	global_load_dwordx2 v[18:19], v1, s[10:11] offset:32 glc dlc
	global_load_dwordx2 v[5:6], v1, s[10:11] offset:40
	v_mov_b32_e32 v16, s12
	v_mov_b32_e32 v17, s13
	s_waitcnt vmcnt(0)
	v_readfirstlane_b32 s6, v5
	v_readfirstlane_b32 s7, v6
	s_and_b64 s[6:7], s[6:7], s[12:13]
	s_mul_i32 s5, s7, 24
	s_mul_hi_u32 s7, s6, 24
	s_mul_i32 s6, s6, 24
	s_add_i32 s7, s7, s5
	v_add_co_u32 v9, vcc_lo, v10, s6
	v_add_co_ci_u32_e64 v10, null, s7, v11, vcc_lo
	s_mov_b32 s5, exec_lo
	global_store_dwordx2 v[9:10], v[18:19], off
	s_waitcnt_vscnt null, 0x0
	global_atomic_cmpswap_x2 v[7:8], v1, v[16:19], s[10:11] offset:32 glc
	s_waitcnt vmcnt(0)
	v_cmpx_ne_u64_e64 v[7:8], v[18:19]
	s_cbranch_execz .LBB14_202
; %bb.200:                              ;   in Loop: Header=BB14_4 Depth=1
	s_mov_b32 s6, 0
.LBB14_201:                             ;   Parent Loop BB14_4 Depth=1
                                        ; =>  This Inner Loop Header: Depth=2
	v_mov_b32_e32 v5, s12
	v_mov_b32_e32 v6, s13
	s_sleep 1
	global_store_dwordx2 v[9:10], v[7:8], off
	s_waitcnt_vscnt null, 0x0
	global_atomic_cmpswap_x2 v[5:6], v1, v[5:8], s[10:11] offset:32 glc
	s_waitcnt vmcnt(0)
	v_cmp_eq_u64_e32 vcc_lo, v[5:6], v[7:8]
	v_mov_b32_e32 v8, v6
	v_mov_b32_e32 v7, v5
	s_or_b32 s6, vcc_lo, s6
	s_andn2_b32 exec_lo, exec_lo, s6
	s_cbranch_execnz .LBB14_201
.LBB14_202:                             ;   in Loop: Header=BB14_4 Depth=1
	s_or_b32 exec_lo, exec_lo, s5
	global_load_dwordx2 v[5:6], v1, s[10:11] offset:16
	s_mov_b32 s6, exec_lo
	s_mov_b32 s5, exec_lo
	v_mbcnt_lo_u32_b32 v0, s6, 0
	v_cmpx_eq_u32_e32 0, v0
	s_cbranch_execz .LBB14_204
; %bb.203:                              ;   in Loop: Header=BB14_4 Depth=1
	s_bcnt1_i32_b32 s6, s6
	v_mov_b32_e32 v0, s6
	s_waitcnt vmcnt(0)
	global_atomic_add_x2 v[5:6], v[0:1], off offset:8
.LBB14_204:                             ;   in Loop: Header=BB14_4 Depth=1
	s_or_b32 exec_lo, exec_lo, s5
	s_waitcnt vmcnt(0)
	global_load_dwordx2 v[7:8], v[5:6], off offset:16
	s_waitcnt vmcnt(0)
	v_cmp_eq_u64_e32 vcc_lo, 0, v[7:8]
	s_cbranch_vccnz .LBB14_206
; %bb.205:                              ;   in Loop: Header=BB14_4 Depth=1
	global_load_dword v0, v[5:6], off offset:24
	s_waitcnt vmcnt(0)
	v_readfirstlane_b32 s5, v0
	s_waitcnt_vscnt null, 0x0
	global_store_dwordx2 v[7:8], v[0:1], off
	s_and_b32 m0, s5, 0x7fffff
	s_sendmsg sendmsg(MSG_INTERRUPT)
.LBB14_206:                             ;   in Loop: Header=BB14_4 Depth=1
	s_or_b32 exec_lo, exec_lo, s1
	s_branch .LBB14_210
	.p2align	6
.LBB14_207:                             ;   in Loop: Header=BB14_210 Depth=2
	s_or_b32 exec_lo, exec_lo, s1
	v_readfirstlane_b32 s1, v0
	s_cmp_eq_u32 s1, 0
	s_cbranch_scc1 .LBB14_209
; %bb.208:                              ;   in Loop: Header=BB14_210 Depth=2
	s_sleep 1
	s_cbranch_execnz .LBB14_210
	s_branch .LBB14_212
	.p2align	6
.LBB14_209:                             ;   in Loop: Header=BB14_4 Depth=1
	s_branch .LBB14_212
.LBB14_210:                             ;   Parent Loop BB14_4 Depth=1
                                        ; =>  This Inner Loop Header: Depth=2
	v_mov_b32_e32 v0, 1
	s_and_saveexec_b32 s1, s0
	s_cbranch_execz .LBB14_207
; %bb.211:                              ;   in Loop: Header=BB14_210 Depth=2
	global_load_dword v0, v[14:15], off offset:20 glc dlc
	s_waitcnt vmcnt(0)
	buffer_gl1_inv
	buffer_gl0_inv
	v_and_b32_e32 v0, 1, v0
	s_branch .LBB14_207
.LBB14_212:                             ;   in Loop: Header=BB14_4 Depth=1
	s_and_saveexec_b32 s5, s0
	s_cbranch_execz .LBB14_2
; %bb.213:                              ;   in Loop: Header=BB14_4 Depth=1
	s_clause 0x2
	global_load_dwordx2 v[5:6], v1, s[10:11] offset:40
	global_load_dwordx2 v[13:14], v1, s[10:11] offset:24 glc dlc
	global_load_dwordx2 v[7:8], v1, s[10:11]
	s_waitcnt vmcnt(2)
	v_readfirstlane_b32 s6, v5
	v_readfirstlane_b32 s7, v6
	s_add_u32 s14, s6, 1
	s_addc_u32 s15, s7, 0
	s_add_u32 s0, s14, s12
	s_addc_u32 s1, s15, s13
	s_cmp_eq_u64 s[0:1], 0
	s_cselect_b32 s1, s15, s1
	s_cselect_b32 s0, s14, s0
	v_mov_b32_e32 v12, s1
	s_and_b64 s[6:7], s[0:1], s[6:7]
	v_mov_b32_e32 v11, s0
	s_mul_i32 s7, s7, 24
	s_mul_hi_u32 s12, s6, 24
	s_mul_i32 s6, s6, 24
	s_add_i32 s12, s12, s7
	s_waitcnt vmcnt(0)
	v_add_co_u32 v9, vcc_lo, v7, s6
	v_add_co_ci_u32_e64 v10, null, s12, v8, vcc_lo
	global_store_dwordx2 v[9:10], v[13:14], off
	s_waitcnt_vscnt null, 0x0
	global_atomic_cmpswap_x2 v[7:8], v1, v[11:14], s[10:11] offset:24 glc
	s_waitcnt vmcnt(0)
	v_cmp_ne_u64_e32 vcc_lo, v[7:8], v[13:14]
	s_and_b32 exec_lo, exec_lo, vcc_lo
	s_cbranch_execz .LBB14_2
; %bb.214:                              ;   in Loop: Header=BB14_4 Depth=1
	s_mov_b32 s6, 0
.LBB14_215:                             ;   Parent Loop BB14_4 Depth=1
                                        ; =>  This Inner Loop Header: Depth=2
	v_mov_b32_e32 v5, s0
	v_mov_b32_e32 v6, s1
	s_sleep 1
	global_store_dwordx2 v[9:10], v[7:8], off
	s_waitcnt_vscnt null, 0x0
	global_atomic_cmpswap_x2 v[5:6], v1, v[5:8], s[10:11] offset:24 glc
	s_waitcnt vmcnt(0)
	v_cmp_eq_u64_e32 vcc_lo, v[5:6], v[7:8]
	v_mov_b32_e32 v8, v6
	v_mov_b32_e32 v7, v5
	s_or_b32 s6, vcc_lo, s6
	s_andn2_b32 exec_lo, exec_lo, s6
	s_cbranch_execnz .LBB14_215
	s_branch .LBB14_2
.LBB14_216:
	s_endpgm
	.section	.rodata,"a",@progbits
	.p2align	6, 0x0
	.amdhsa_kernel _Z5printiPN2rw3CutEPi
		.amdhsa_group_segment_fixed_size 0
		.amdhsa_private_segment_fixed_size 0
		.amdhsa_kernarg_size 280
		.amdhsa_user_sgpr_count 6
		.amdhsa_user_sgpr_private_segment_buffer 1
		.amdhsa_user_sgpr_dispatch_ptr 0
		.amdhsa_user_sgpr_queue_ptr 0
		.amdhsa_user_sgpr_kernarg_segment_ptr 1
		.amdhsa_user_sgpr_dispatch_id 0
		.amdhsa_user_sgpr_flat_scratch_init 0
		.amdhsa_user_sgpr_private_segment_size 0
		.amdhsa_wavefront_size32 1
		.amdhsa_uses_dynamic_stack 0
		.amdhsa_system_sgpr_private_segment_wavefront_offset 0
		.amdhsa_system_sgpr_workgroup_id_x 1
		.amdhsa_system_sgpr_workgroup_id_y 0
		.amdhsa_system_sgpr_workgroup_id_z 0
		.amdhsa_system_sgpr_workgroup_info 0
		.amdhsa_system_vgpr_workitem_id 0
		.amdhsa_next_free_vgpr 36
		.amdhsa_next_free_sgpr 26
		.amdhsa_reserve_vcc 1
		.amdhsa_reserve_flat_scratch 0
		.amdhsa_float_round_mode_32 0
		.amdhsa_float_round_mode_16_64 0
		.amdhsa_float_denorm_mode_32 3
		.amdhsa_float_denorm_mode_16_64 3
		.amdhsa_dx10_clamp 1
		.amdhsa_ieee_mode 1
		.amdhsa_fp16_overflow 0
		.amdhsa_workgroup_processor_mode 1
		.amdhsa_memory_ordered 1
		.amdhsa_forward_progress 1
		.amdhsa_shared_vgpr_count 0
		.amdhsa_exception_fp_ieee_invalid_op 0
		.amdhsa_exception_fp_denorm_src 0
		.amdhsa_exception_fp_ieee_div_zero 0
		.amdhsa_exception_fp_ieee_overflow 0
		.amdhsa_exception_fp_ieee_underflow 0
		.amdhsa_exception_fp_ieee_inexact 0
		.amdhsa_exception_int_div_zero 0
	.end_amdhsa_kernel
	.text
.Lfunc_end14:
	.size	_Z5printiPN2rw3CutEPi, .Lfunc_end14-_Z5printiPN2rw3CutEPi
                                        ; -- End function
	.set _Z5printiPN2rw3CutEPi.num_vgpr, 36
	.set _Z5printiPN2rw3CutEPi.num_agpr, 0
	.set _Z5printiPN2rw3CutEPi.numbered_sgpr, 26
	.set _Z5printiPN2rw3CutEPi.num_named_barrier, 0
	.set _Z5printiPN2rw3CutEPi.private_seg_size, 0
	.set _Z5printiPN2rw3CutEPi.uses_vcc, 1
	.set _Z5printiPN2rw3CutEPi.uses_flat_scratch, 0
	.set _Z5printiPN2rw3CutEPi.has_dyn_sized_stack, 0
	.set _Z5printiPN2rw3CutEPi.has_recursion, 0
	.set _Z5printiPN2rw3CutEPi.has_indirect_call, 0
	.section	.AMDGPU.csdata,"",@progbits
; Kernel info:
; codeLenInByte = 8988
; TotalNumSgprs: 28
; NumVgprs: 36
; ScratchSize: 0
; MemoryBound: 0
; FloatMode: 240
; IeeeMode: 1
; LDSByteSize: 0 bytes/workgroup (compile time only)
; SGPRBlocks: 0
; VGPRBlocks: 4
; NumSGPRsForWavesPerEU: 28
; NumVGPRsForWavesPerEU: 36
; Occupancy: 16
; WaveLimiterHint : 1
; COMPUTE_PGM_RSRC2:SCRATCH_EN: 0
; COMPUTE_PGM_RSRC2:USER_SGPR: 6
; COMPUTE_PGM_RSRC2:TRAP_HANDLER: 0
; COMPUTE_PGM_RSRC2:TGID_X_EN: 1
; COMPUTE_PGM_RSRC2:TGID_Y_EN: 0
; COMPUTE_PGM_RSRC2:TGID_Z_EN: 0
; COMPUTE_PGM_RSRC2:TIDIG_COMP_CNT: 0
	.text
	.protected	_Z16EvaluateNodeWaveiPiS_S_S_S_S_PN2rw3CutES2_S_PNS0_7LibraryEPNS0_9TableNodeEPKii ; -- Begin function _Z16EvaluateNodeWaveiPiS_S_S_S_S_PN2rw3CutES2_S_PNS0_7LibraryEPNS0_9TableNodeEPKii
	.globl	_Z16EvaluateNodeWaveiPiS_S_S_S_S_PN2rw3CutES2_S_PNS0_7LibraryEPNS0_9TableNodeEPKii
	.p2align	8
	.type	_Z16EvaluateNodeWaveiPiS_S_S_S_S_PN2rw3CutES2_S_PNS0_7LibraryEPNS0_9TableNodeEPKii,@function
_Z16EvaluateNodeWaveiPiS_S_S_S_S_PN2rw3CutES2_S_PNS0_7LibraryEPNS0_9TableNodeEPKii: ; @_Z16EvaluateNodeWaveiPiS_S_S_S_S_PN2rw3CutES2_S_PNS0_7LibraryEPNS0_9TableNodeEPKii
; %bb.0:
	s_add_u32 s6, s6, s9
	s_movk_i32 s32, 0x4000
	s_addc_u32 s7, s7, 0
	s_setreg_b32 hwreg(HW_REG_FLAT_SCR_LO), s6
	s_setreg_b32 hwreg(HW_REG_FLAT_SCR_HI), s7
	s_mov_b64 s[36:37], s[4:5]
	s_load_dword s4, s[4:5], 0x7c
	s_load_dword s5, s[36:37], 0x0
	s_add_u32 s0, s0, s9
	s_addc_u32 s1, s1, 0
	s_waitcnt lgkmcnt(0)
	s_and_b32 s4, s4, 0xffff
	v_mad_u64_u32 v[46:47], null, s8, s4, v[0:1]
	s_mov_b32 s4, exec_lo
	v_cmpx_gt_u32_e64 s5, v46
	s_cbranch_execz .LBB15_76
; %bb.1:
	s_load_dwordx8 s[48:55], s[36:37], 0x48
	v_ashrrev_i32_e32 v47, 31, v46
	s_load_dwordx16 s[4:19], s[36:37], 0x8
                                        ; implicit-def: $vgpr78 : SGPR spill to VGPR lane
	s_mov_b32 s39, 0
	v_lshlrev_b64 v[56:57], 2, v[46:47]
	s_waitcnt lgkmcnt(0)
	v_add_co_u32 v0, vcc_lo, s54, v56
	v_add_co_ci_u32_e64 v1, null, s55, v57, vcc_lo
	v_writelane_b32 v78, s4, 0
	global_load_dword v0, v[0:1], off offset:4
	v_writelane_b32 v78, s5, 1
	v_writelane_b32 v78, s6, 2
	v_writelane_b32 v78, s7, 3
	v_writelane_b32 v78, s8, 4
	v_writelane_b32 v78, s9, 5
	v_writelane_b32 v78, s10, 6
	v_writelane_b32 v78, s11, 7
	v_writelane_b32 v78, s12, 8
	v_writelane_b32 v78, s13, 9
	v_writelane_b32 v78, s14, 10
	v_writelane_b32 v78, s15, 11
	v_writelane_b32 v78, s16, 12
	v_writelane_b32 v78, s17, 13
	v_writelane_b32 v78, s18, 14
	v_writelane_b32 v78, s19, 15
	s_mov_b32 s4, exec_lo
	s_waitcnt vmcnt(0)
	v_cmpx_ne_u32_e32 0, v0
	s_xor_b32 s27, exec_lo, s4
	s_cbranch_execz .LBB15_74
; %bb.2:
	v_writelane_b32 v78, s27, 16
	s_add_u32 s64, s50, 0x80180
	s_addc_u32 s65, s51, 0
	s_add_u32 s4, s50, 0x80000
	s_addc_u32 s80, s51, 0
	s_add_u32 s66, s50, 0x40000
	v_writelane_b32 v78, s4, 17
	s_addc_u32 s67, s51, 0
	s_add_u32 s81, s50, 0xc0180
	s_addc_u32 s82, s51, 0
	s_add_u32 s4, s50, 0xc4dd0
	v_add_nc_u32_e32 v44, 1, v46
	v_writelane_b32 v78, s4, 18
	s_addc_u32 s4, s51, 0
	v_mov_b32_e32 v73, 0x5f5e0ff
	v_mov_b32_e32 v72, -1
	v_lshlrev_b32_e32 v47, 3, v44
	v_writelane_b32 v78, s4, 19
	s_add_u32 s4, s50, 0xd1df0
	v_mov_b32_e32 v58, 0
	v_mov_b32_e32 v74, 2
	v_mov_b32_e32 v76, -1
	v_writelane_b32 v78, s4, 20
	s_addc_u32 s4, s51, 0
	v_mov_b32_e32 v63, -1
	s_mov_b64 s[54:55], src_private_base
	s_mov_b32 s101, 0
	v_writelane_b32 v78, s4, 21
	s_add_u32 s4, s50, 0xdee10
	s_mov_b32 s103, 0
                                        ; implicit-def: $sgpr104
                                        ; implicit-def: $sgpr102
                                        ; implicit-def: $sgpr70
                                        ; implicit-def: $sgpr83
                                        ; implicit-def: $vgpr62
	v_writelane_b32 v78, s4, 22
	s_addc_u32 s4, s51, 0
	v_writelane_b32 v78, s4, 23
	s_add_u32 s4, s50, 0xebe30
	v_writelane_b32 v78, s4, 24
	s_addc_u32 s4, s51, 0
	s_add_u32 s68, s50, 0xc04f8
	v_writelane_b32 v78, s4, 25
	s_addc_u32 s4, s51, 0
	v_writelane_b32 v78, s4, 26
	s_add_u32 s4, s50, 0xc0870
	s_addc_u32 s5, s51, 0
	v_writelane_b32 v78, s4, 27
	v_writelane_b32 v78, s5, 28
	s_branch .LBB15_4
.LBB15_3:                               ;   in Loop: Header=BB15_4 Depth=1
	s_or_b32 exec_lo, exec_lo, s4
	s_and_b32 s4, exec_lo, s6
	s_or_b32 s101, s4, s101
	s_andn2_b32 s4, s102, exec_lo
	s_and_b32 s5, s83, exec_lo
	s_andn2_b32 s6, s104, exec_lo
	s_and_b32 s7, s70, exec_lo
	s_or_b32 s102, s4, s5
	s_or_b32 s104, s6, s7
	s_andn2_b32 exec_lo, exec_lo, s101
	s_cbranch_execz .LBB15_69
.LBB15_4:                               ; =>This Loop Header: Depth=1
                                        ;     Child Loop BB15_13 Depth 2
                                        ;       Child Loop BB15_26 Depth 3
                                        ;       Child Loop BB15_39 Depth 3
                                        ;     Child Loop BB15_51 Depth 2
	s_load_dwordx16 s[4:19], s[36:37], 0x8
	v_or_b32_e32 v0, s103, v47
	s_waitcnt lgkmcnt(0)
	s_mov_b32 s5, -1
	s_mov_b32 s54, exec_lo
                                        ; implicit-def: $sgpr7
                                        ; implicit-def: $sgpr4
	v_mad_i64_i32 v[40:41], null, v0, 28, s[16:17]
	global_load_ubyte v0, v[40:41], off offset:24
	s_waitcnt vmcnt(0)
	v_cmpx_ne_u16_e32 0, v0
	s_cbranch_execz .LBB15_67
; %bb.5:                                ;   in Loop: Header=BB15_4 Depth=1
	global_load_dword v59, v[40:41], off offset:20
	s_mov_b32 s71, exec_lo
                                        ; implicit-def: $sgpr7
                                        ; implicit-def: $sgpr4
	s_waitcnt vmcnt(0)
	v_bfe_u32 v77, v59, 27, 4
	v_cmp_gt_u32_e64 s69, 3, v77
	v_cmpx_lt_u32_e32 2, v77
	s_cbranch_execz .LBB15_66
; %bb.6:                                ;   in Loop: Header=BB15_4 Depth=1
	s_mov_b32 s4, exec_lo
	v_cmpx_eq_u32_e32 3, v77
	s_cbranch_execz .LBB15_8
; %bb.7:                                ;   in Loop: Header=BB15_4 Depth=1
	s_mov_b32 s5, 0x87ffffff
	v_and_or_b32 v59, v59, s5, 0x20000000
	global_store_dwordx2 v[40:41], v[58:59], off offset:16
.LBB15_8:                               ;   in Loop: Header=BB15_4 Depth=1
	s_or_b32 exec_lo, exec_lo, s4
	s_load_dwordx16 s[8:23], s[36:37], 0x8
	v_mov_b32_e32 v0, v44
	v_mov_b32_e32 v1, v40
	;; [unrolled: 1-line block ×11, first 2 shown]
	s_getpc_b64 s[4:5]
	s_add_u32 s4, s4, _Z8CalcMFFCiPN2rw3CutEPiS2_S2_S2_S2_S2_i@rel32@lo+4
	s_addc_u32 s5, s5, _Z8CalcMFFCiPN2rw3CutEPiS2_S2_S2_S2_S2_i@rel32@hi+12
	buffer_store_dword v58, off, s[0:3], 0 offset:216
	s_waitcnt lgkmcnt(0)
	v_mov_b32_e32 v3, s10
	v_mov_b32_e32 v4, s11
	;; [unrolled: 1-line block ×4, first 2 shown]
	s_swappc_b64 s[30:31], s[4:5]
	v_lshlrev_b32_sdwa v2, v74, v59 dst_sel:DWORD dst_unused:UNUSED_PAD src0_sel:DWORD src1_sel:WORD_0
	v_mov_b32_e32 v45, v0
	v_readlane_b32 s4, v78, 17
	s_clause 0x1
	global_load_dword v0, v2, s[66:67]
	global_load_dword v42, v2, s[64:65]
	s_waitcnt vmcnt(1)
	v_ashrrev_i32_e32 v1, 31, v0
	s_waitcnt vmcnt(0)
	v_ashrrev_i32_e32 v43, 31, v42
	v_lshlrev_b64 v[0:1], 4, v[0:1]
	v_add_co_u32 v0, vcc_lo, s4, v0
	v_add_co_ci_u32_e64 v1, null, s80, v1, vcc_lo
	s_load_dwordx16 s[4:19], s[36:37], 0x8
	s_waitcnt lgkmcnt(0)
	s_mov_b32 s7, -1
	s_mov_b32 s6, -1
	global_load_dwordx4 v[3:6], v[0:1], off
	v_lshlrev_b64 v[0:1], 2, v[42:43]
	s_mov_b32 s10, exec_lo
	v_add_co_u32 v7, vcc_lo, s81, v0
	v_add_co_ci_u32_e64 v8, null, s82, v1, vcc_lo
	global_load_dword v12, v[7:8], off
	s_waitcnt vmcnt(1)
	v_ashrrev_i32_e32 v8, 31, v3
	v_mov_b32_e32 v7, v3
	v_ashrrev_i32_e32 v10, 31, v4
	v_mov_b32_e32 v9, v4
	;; [unrolled: 2-line block ×4, first 2 shown]
	v_lshlrev_b64 v[5:6], 2, v[7:8]
	v_lshlrev_b64 v[7:8], 2, v[9:10]
	;; [unrolled: 1-line block ×4, first 2 shown]
	v_add_co_u32 v5, vcc_lo, v40, v5
	v_add_co_ci_u32_e64 v6, null, v41, v6, vcc_lo
	v_add_co_u32 v7, vcc_lo, v40, v7
	v_add_co_ci_u32_e64 v8, null, v41, v8, vcc_lo
	;; [unrolled: 2-line block ×4, first 2 shown]
	s_clause 0x3
	global_load_dword v5, v[5:6], off offset:4
	global_load_dword v7, v[7:8], off offset:4
	;; [unrolled: 1-line block ×4, first 2 shown]
	s_waitcnt vmcnt(3)
	v_ashrrev_i32_e32 v6, 31, v5
	s_waitcnt vmcnt(2)
	v_ashrrev_i32_e32 v8, 31, v7
	;; [unrolled: 2-line block ×4, first 2 shown]
	v_lshlrev_b64 v[13:14], 2, v[5:6]
	v_lshlrev_b64 v[15:16], 2, v[7:8]
	;; [unrolled: 1-line block ×4, first 2 shown]
	v_add_co_u32 v13, vcc_lo, s14, v13
	v_add_co_ci_u32_e64 v14, null, s15, v14, vcc_lo
	v_add_co_u32 v15, vcc_lo, s14, v15
	v_add_co_ci_u32_e64 v16, null, s15, v16, vcc_lo
	;; [unrolled: 2-line block ×4, first 2 shown]
	s_clause 0x3
	global_load_dword v4, v[13:14], off
	global_load_dword v6, v[15:16], off
	;; [unrolled: 1-line block ×4, first 2 shown]
	buffer_store_dword v72, off, s[0:3], 0 offset:288
	buffer_store_dword v72, off, s[0:3], 0
	buffer_store_dword v72, off, s[0:3], 0 offset:292
	buffer_store_dword v72, off, s[0:3], 0 offset:4
	;; [unrolled: 1-line block ×106, first 2 shown]
	buffer_store_dword v5, off, s[0:3], 0
	buffer_store_dword v7, off, s[0:3], 0 offset:4
	buffer_store_dword v3, off, s[0:3], 0 offset:8
	;; [unrolled: 1-line block ×3, first 2 shown]
	s_waitcnt vmcnt(3)
	buffer_store_dword v4, off, s[0:3], 0 offset:288
	s_waitcnt vmcnt(2)
	buffer_store_dword v6, off, s[0:3], 0 offset:292
	;; [unrolled: 2-line block ×4, first 2 shown]
	v_cmpx_lt_i32_e32 0, v12
	s_cbranch_execz .LBB15_47
; %bb.9:                                ;   in Loop: Header=BB15_4 Depth=1
	global_load_dword v4, v2, s[50:51]
	buffer_load_dword v13, off, s[0:3], 0 offset:216
	s_getpc_b64 s[4:5]
	s_add_u32 s4, s4, P@rel32@lo+4
	s_addc_u32 s5, s5, P@rel32@hi+12
	v_mad_i64_i32 v[6:7], null, 0xf0, v42, 0
	global_load_dwordx2 v[2:3], v58, s[4:5]
	v_readlane_b32 s4, v78, 18
	v_mov_b32_e32 v5, v58
	s_mov_b32 s11, 0
                                        ; implicit-def: $sgpr12
                                        ; implicit-def: $sgpr13
                                        ; implicit-def: $sgpr14
	s_mov_b32 s38, s11
	v_add_co_u32 v14, vcc_lo, s4, v6
	v_readlane_b32 s4, v78, 19
	v_add_co_ci_u32_e64 v15, null, s4, v7, vcc_lo
	v_readlane_b32 s4, v78, 20
	v_add_co_u32 v16, vcc_lo, s4, v6
	v_readlane_b32 s4, v78, 21
	v_add_co_ci_u32_e64 v17, null, s4, v7, vcc_lo
	v_readlane_b32 s4, v78, 22
	;; [unrolled: 4-line block ×3, first 2 shown]
	v_add_co_u32 v20, vcc_lo, s4, v6
	v_readlane_b32 s4, v78, 25
	v_add_co_ci_u32_e64 v21, null, s4, v7, vcc_lo
	s_waitcnt vmcnt(2)
	v_and_b32_e32 v4, 15, v4
	s_waitcnt vmcnt(1)
	v_cmp_lt_i32_e64 s4, 0, v13
	s_branch .LBB15_13
.LBB15_10:                              ;   in Loop: Header=BB15_13 Depth=2
	s_or_b32 exec_lo, exec_lo, s18
	s_add_i32 s38, s38, 1
	s_xor_b32 s6, exec_lo, -1
	v_cmp_eq_u32_e32 vcc_lo, s38, v12
	s_orn2_b32 s5, vcc_lo, exec_lo
.LBB15_11:                              ;   in Loop: Header=BB15_13 Depth=2
	s_or_b32 exec_lo, exec_lo, s16
	s_andn2_b32 s8, s14, exec_lo
	s_and_b32 s6, s6, exec_lo
	s_andn2_b32 s9, s13, exec_lo
	s_and_b32 s5, s5, exec_lo
	s_or_b32 s14, s8, s6
	s_or_b32 s13, s9, s5
.LBB15_12:                              ;   in Loop: Header=BB15_13 Depth=2
	s_or_b32 exec_lo, exec_lo, s15
	s_xor_b32 s5, s14, -1
	s_and_b32 s6, exec_lo, s13
	s_or_b32 s11, s6, s11
	s_andn2_b32 s6, s12, exec_lo
	s_and_b32 s5, s5, exec_lo
	s_or_b32 s12, s6, s5
	s_andn2_b32 exec_lo, exec_lo, s11
	s_cbranch_execz .LBB15_46
.LBB15_13:                              ;   Parent Loop BB15_4 Depth=1
                                        ; =>  This Loop Header: Depth=2
                                        ;       Child Loop BB15_26 Depth 3
                                        ;       Child Loop BB15_39 Depth 3
	s_lshl_b64 s[8:9], s[38:39], 2
	s_or_b32 s14, s14, exec_lo
	v_add_co_u32 v6, vcc_lo, v14, s8
	v_add_co_ci_u32_e64 v7, null, s9, v15, vcc_lo
	s_or_b32 s13, s13, exec_lo
	s_mov_b32 s15, exec_lo
	global_load_dword v6, v[6:7], off
	s_waitcnt vmcnt(0)
	v_lshl_add_u32 v7, v6, 2, 0x120
	buffer_load_dword v8, v7, s[0:3], 0 offen
	s_waitcnt vmcnt(0)
	v_cmpx_ne_u32_e32 -1, v8
	s_cbranch_execz .LBB15_12
; %bb.14:                               ;   in Loop: Header=BB15_13 Depth=2
	v_add_co_u32 v9, vcc_lo, v16, s8
	v_add_co_ci_u32_e64 v10, null, s9, v17, vcc_lo
	s_mov_b32 s5, -1
	s_mov_b32 s6, -1
	s_mov_b32 s16, exec_lo
	global_load_dword v7, v[9:10], off
	s_waitcnt vmcnt(0)
	v_lshl_add_u32 v9, v7, 2, 0x120
	buffer_load_dword v9, v9, s[0:3], 0 offen
	s_waitcnt vmcnt(0)
	v_cmpx_ne_u32_e32 -1, v9
	s_cbranch_execz .LBB15_11
; %bb.15:                               ;   in Loop: Header=BB15_13 Depth=2
	v_lshl_add_u32 v10, v6, 2, 0
	v_max_i32_e32 v8, v8, v9
	s_lshl_b32 s19, s38, 2
	s_mov_b32 s18, exec_lo
	s_add_i32 s17, s19, 0x120
	buffer_load_dword v22, v10, s[0:3], 0 offen
	v_add_nc_u32_e32 v8, 1, v8
	v_mov_b32_e32 v9, s17
	buffer_store_dword v8, v9, s[0:3], 0 offen offset:16
	s_waitcnt vmcnt(0)
	v_cmpx_ne_u32_e32 -1, v22
	s_cbranch_execz .LBB15_10
; %bb.16:                               ;   in Loop: Header=BB15_13 Depth=2
	v_lshl_add_u32 v8, v7, 2, 0
	v_cmp_ne_u32_e64 s5, v22, v44
	buffer_load_dword v8, v8, s[0:3], 0 offen
	s_waitcnt vmcnt(0)
	v_cmp_ne_u32_e32 vcc_lo, -1, v8
	v_cmp_ne_u32_e64 s6, v8, v44
	s_and_b32 s5, s5, vcc_lo
	s_and_b32 s5, s6, s5
	s_and_b32 exec_lo, exec_lo, s5
	s_cbranch_execz .LBB15_10
; %bb.17:                               ;   in Loop: Header=BB15_13 Depth=2
	v_add_co_u32 v9, vcc_lo, v20, s8
	v_add_co_ci_u32_e64 v10, null, s9, v21, vcc_lo
	v_add_co_u32 v23, vcc_lo, v18, s8
	v_add_co_ci_u32_e64 v24, null, s9, v19, vcc_lo
	s_clause 0x1
	global_load_dword v11, v[9:10], off
	global_load_dword v23, v[23:24], off
	v_lshrrev_b64 v[9:10], v7, v[4:5]
	v_lshrrev_b64 v[6:7], v6, v[4:5]
	v_mov_b32_e32 v25, v8
	s_mov_b32 s5, exec_lo
	v_and_b32_e32 v7, 1, v9
	v_and_b32_e32 v9, 1, v6
	s_waitcnt vmcnt(1)
	v_xor_b32_e32 v6, v11, v7
	s_waitcnt vmcnt(0)
	v_xor_b32_e32 v23, v23, v9
	v_mov_b32_e32 v24, v6
	v_cmpx_gt_i32_e64 v22, v8
; %bb.18:                               ;   in Loop: Header=BB15_13 Depth=2
	v_mov_b32_e32 v24, v23
	v_mov_b32_e32 v23, v6
	;; [unrolled: 1-line block ×4, first 2 shown]
; %bb.19:                               ;   in Loop: Header=BB15_13 Depth=2
	s_or_b32 exec_lo, exec_lo, s5
	global_load_dword v7, v[2:3], off
	v_mul_lo_u32 v6, 0x38f, v23
	v_mul_lo_u32 v8, 0x161, v24
	;; [unrolled: 1-line block ×4, first 2 shown]
	s_mov_b32 s5, exec_lo
	v_xor_b32_e32 v6, v6, v8
	v_xor3_b32 v6, v6, v10, v9
                                        ; implicit-def: $vgpr8_vgpr9
	s_waitcnt vmcnt(0)
	v_readfirstlane_b32 s6, v7
	v_ashrrev_i32_e32 v7, 31, v6
	s_ashr_i32 s9, s6, 31
	v_or_b32_e32 v59, s9, v7
	v_cmpx_ne_u64_e32 0, v[58:59]
	s_xor_b32 s8, exec_lo, s5
	s_cbranch_execz .LBB15_21
; %bb.20:                               ;   in Loop: Header=BB15_13 Depth=2
	v_cvt_f32_u32_e32 v8, s6
	v_cvt_f32_u32_e32 v9, s9
	s_sub_u32 s21, 0, s6
	s_subb_u32 s22, 0, s9
	v_fmac_f32_e32 v8, 0x4f800000, v9
	v_rcp_f32_e32 v8, v8
	v_mul_f32_e32 v8, 0x5f7ffffc, v8
	v_mul_f32_e32 v9, 0x2f800000, v8
	v_trunc_f32_e32 v9, v9
	v_fmac_f32_e32 v8, 0xcf800000, v9
	v_cvt_u32_f32_e32 v9, v9
	v_cvt_u32_f32_e32 v8, v8
	v_readfirstlane_b32 s5, v9
	v_readfirstlane_b32 s20, v8
	s_mul_i32 s23, s21, s5
	s_mul_hi_u32 s25, s21, s20
	s_mul_i32 s24, s22, s20
	s_add_i32 s23, s25, s23
	s_mul_i32 s26, s21, s20
	s_add_i32 s23, s23, s24
	s_mul_hi_u32 s25, s20, s26
	s_mul_i32 s28, s20, s23
	s_mul_hi_u32 s27, s5, s26
	s_mul_i32 s24, s5, s26
	s_mul_hi_u32 s26, s20, s23
	s_add_u32 s25, s25, s28
	s_addc_u32 s26, 0, s26
	s_mul_hi_u32 s29, s5, s23
	s_add_u32 s24, s25, s24
	s_mul_i32 s23, s5, s23
	s_addc_u32 s24, s26, s27
	s_addc_u32 s25, s29, 0
	s_add_u32 s23, s24, s23
	s_addc_u32 s24, 0, s25
	s_add_u32 s20, s20, s23
	s_cselect_b32 s23, -1, 0
	s_mul_hi_u32 s25, s21, s20
	s_cmp_lg_u32 s23, 0
	s_mul_i32 s23, s21, s20
	s_addc_u32 s5, s5, s24
	s_mul_i32 s22, s22, s20
	s_mul_i32 s21, s21, s5
	s_mul_hi_u32 s24, s20, s23
	s_add_i32 s21, s25, s21
	s_mul_hi_u32 s25, s5, s23
	s_add_i32 s21, s21, s22
	s_mul_i32 s22, s5, s23
	s_mul_i32 s27, s20, s21
	s_mul_hi_u32 s26, s20, s21
	s_add_u32 s24, s24, s27
	s_addc_u32 s26, 0, s26
	s_mul_hi_u32 s23, s5, s21
	s_add_u32 s22, s24, s22
	s_mul_i32 s21, s5, s21
	s_addc_u32 s22, s26, s25
	s_addc_u32 s23, s23, 0
	s_add_u32 s21, s22, s21
	s_addc_u32 s22, 0, s23
	s_add_u32 s20, s20, s21
	s_cselect_b32 s21, -1, 0
	v_mul_hi_u32 v28, v6, s20
	s_cmp_lg_u32 s21, 0
	v_mad_u64_u32 v[10:11], null, v7, s20, 0
	s_addc_u32 s5, s5, s22
	v_mad_u64_u32 v[8:9], null, v6, s5, 0
	v_mad_u64_u32 v[26:27], null, v7, s5, 0
	v_add_co_u32 v8, vcc_lo, v28, v8
	v_add_co_ci_u32_e64 v9, null, 0, v9, vcc_lo
	v_add_co_u32 v8, vcc_lo, v8, v10
	v_add_co_ci_u32_e32 v8, vcc_lo, v9, v11, vcc_lo
	v_add_co_ci_u32_e32 v9, vcc_lo, 0, v27, vcc_lo
	v_add_co_u32 v8, vcc_lo, v8, v26
	v_add_co_ci_u32_e64 v10, null, 0, v9, vcc_lo
	v_mul_lo_u32 v11, s9, v8
	v_mad_u64_u32 v[8:9], null, s6, v8, 0
	v_mul_lo_u32 v10, s6, v10
	v_sub_co_u32 v6, vcc_lo, v6, v8
	v_add3_u32 v9, v9, v10, v11
	v_cmp_le_u32_e64 s5, s6, v6
	v_sub_nc_u32_e32 v10, v7, v9
	v_sub_co_ci_u32_e64 v7, null, v7, v9, vcc_lo
	v_cndmask_b32_e64 v11, 0, -1, s5
	v_subrev_co_ci_u32_e64 v8, null, s9, v10, vcc_lo
	v_sub_co_u32 v9, vcc_lo, v6, s6
	v_subrev_co_ci_u32_e64 v10, null, 0, v8, vcc_lo
	v_cmp_le_u32_e64 s5, s6, v9
	v_subrev_co_ci_u32_e64 v8, null, s9, v8, vcc_lo
	v_cmp_le_u32_e32 vcc_lo, s9, v7
	v_cndmask_b32_e64 v26, 0, -1, s5
	v_cmp_le_u32_e64 s5, s9, v10
	v_cndmask_b32_e64 v28, 0, -1, vcc_lo
	v_cmp_eq_u32_e32 vcc_lo, s9, v10
	v_cndmask_b32_e64 v27, 0, -1, s5
	v_cmp_eq_u32_e64 s5, s9, v7
	v_cndmask_b32_e32 v26, v27, v26, vcc_lo
	v_sub_co_u32 v27, vcc_lo, v9, s6
	v_subrev_co_ci_u32_e64 v8, null, 0, v8, vcc_lo
	v_cmp_ne_u32_e32 vcc_lo, 0, v26
	v_cndmask_b32_e64 v11, v28, v11, s5
	v_cndmask_b32_e32 v8, v10, v8, vcc_lo
	v_cndmask_b32_e32 v10, v9, v27, vcc_lo
	v_cmp_ne_u32_e32 vcc_lo, 0, v11
	v_cndmask_b32_e32 v9, v7, v8, vcc_lo
	v_cndmask_b32_e32 v8, v6, v10, vcc_lo
                                        ; implicit-def: $vgpr6_vgpr7
.LBB15_21:                              ;   in Loop: Header=BB15_13 Depth=2
	s_andn2_saveexec_b32 s5, s8
	s_cbranch_execz .LBB15_23
; %bb.22:                               ;   in Loop: Header=BB15_13 Depth=2
	v_cvt_f32_u32_e32 v7, s6
	s_sub_i32 s8, 0, s6
	v_mov_b32_e32 v9, v58
	v_rcp_iflag_f32_e32 v7, v7
	v_mul_f32_e32 v7, 0x4f7ffffe, v7
	v_cvt_u32_f32_e32 v7, v7
	v_mul_lo_u32 v8, s8, v7
	v_mul_hi_u32 v8, v7, v8
	v_add_nc_u32_e32 v7, v7, v8
	v_mul_hi_u32 v7, v6, v7
	v_mul_lo_u32 v7, v7, s6
	v_sub_nc_u32_e32 v6, v6, v7
	v_subrev_nc_u32_e32 v7, s6, v6
	v_cmp_le_u32_e32 vcc_lo, s6, v6
	v_cndmask_b32_e32 v6, v6, v7, vcc_lo
	v_subrev_nc_u32_e32 v7, s6, v6
	v_cmp_le_u32_e32 vcc_lo, s6, v6
	v_cndmask_b32_e32 v8, v6, v7, vcc_lo
.LBB15_23:                              ;   in Loop: Header=BB15_13 Depth=2
	s_or_b32 exec_lo, exec_lo, s5
	s_mov_b32 s5, 0
                                        ; implicit-def: $sgpr6
                                        ; implicit-def: $vgpr26
	s_branch .LBB15_26
.LBB15_24:                              ;   in Loop: Header=BB15_26 Depth=3
	s_or_b32 exec_lo, exec_lo, s21
	s_xor_b32 s9, s20, -1
	s_andn2_b32 s6, s6, exec_lo
	s_and_b32 s9, s9, exec_lo
	s_or_b32 s6, s6, s9
.LBB15_25:                              ;   in Loop: Header=BB15_26 Depth=3
	s_or_b32 exec_lo, exec_lo, s8
	v_mov_b32_e32 v26, v6
	s_and_b32 s8, exec_lo, s6
	s_or_b32 s5, s8, s5
	s_andn2_b32 exec_lo, exec_lo, s5
	s_cbranch_execz .LBB15_35
.LBB15_26:                              ;   Parent Loop BB15_4 Depth=1
                                        ;     Parent Loop BB15_13 Depth=2
                                        ; =>    This Inner Loop Header: Depth=3
	v_lshlrev_b64 v[6:7], 3, v[8:9]
	s_or_b32 s6, s6, exec_lo
	s_mov_b32 s8, exec_lo
	v_add_co_u32 v6, vcc_lo, s52, v6
	v_add_co_ci_u32_e64 v7, null, s53, v7, vcc_lo
	global_load_dword v8, v[6:7], off offset:4
	v_mov_b32_e32 v6, -1
	s_waitcnt vmcnt(0)
	v_cmpx_ne_u32_e32 -1, v8
	s_cbranch_execz .LBB15_25
; %bb.27:                               ;   in Loop: Header=BB15_26 Depth=3
	v_ashrrev_i32_e32 v9, 31, v8
	s_load_dwordx16 s[84:99], s[36:37], 0x8
	s_mov_b32 s20, exec_lo
	v_lshlrev_b64 v[6:7], 3, v[8:9]
	v_add_co_u32 v6, vcc_lo, s52, v6
	v_add_co_ci_u32_e64 v7, null, s53, v7, vcc_lo
	global_load_dword v6, v[6:7], off
	s_waitcnt vmcnt(0)
	v_ashrrev_i32_e32 v7, 31, v6
	v_lshlrev_b64 v[10:11], 2, v[6:7]
	s_waitcnt lgkmcnt(0)
	v_add_co_u32 v27, vcc_lo, s86, v10
	v_add_co_ci_u32_e64 v28, null, s87, v11, vcc_lo
	global_load_dword v7, v[27:28], off
	s_waitcnt vmcnt(0)
	v_cmp_ne_u32_e64 s9, v7, v22
	v_cmpx_eq_u32_e64 v7, v22
	s_cbranch_execz .LBB15_33
; %bb.28:                               ;   in Loop: Header=BB15_26 Depth=3
	s_load_dwordx16 s[84:99], s[36:37], 0x8
	s_mov_b32 s22, exec_lo
	s_waitcnt lgkmcnt(0)
	v_add_co_u32 v27, vcc_lo, s88, v10
	v_add_co_ci_u32_e64 v28, null, s89, v11, vcc_lo
	global_load_dword v7, v[27:28], off
	s_waitcnt vmcnt(0)
	v_cmp_ne_u32_e64 s21, v7, v25
	v_cmpx_eq_u32_e64 v7, v25
	s_cbranch_execz .LBB15_32
; %bb.29:                               ;   in Loop: Header=BB15_26 Depth=3
	s_load_dwordx16 s[84:99], s[36:37], 0x8
	s_mov_b32 s24, exec_lo
	s_waitcnt lgkmcnt(0)
	v_add_co_u32 v27, vcc_lo, s90, v10
	v_add_co_ci_u32_e64 v28, null, s91, v11, vcc_lo
	global_load_dword v7, v[27:28], off
	s_waitcnt vmcnt(0)
	v_cmp_ne_u32_e64 s23, v7, v23
	v_cmpx_eq_u32_e64 v7, v23
	s_cbranch_execz .LBB15_31
; %bb.30:                               ;   in Loop: Header=BB15_26 Depth=3
	s_load_dwordx16 s[84:99], s[36:37], 0x8
	s_andn2_b32 s23, s23, exec_lo
	s_waitcnt lgkmcnt(0)
	v_add_co_u32 v10, vcc_lo, s92, v10
	v_add_co_ci_u32_e64 v11, null, s93, v11, vcc_lo
	global_load_dword v7, v[10:11], off
	s_waitcnt vmcnt(0)
	v_cmp_ne_u32_e32 vcc_lo, v7, v24
	s_and_b32 s25, vcc_lo, exec_lo
	s_or_b32 s23, s23, s25
.LBB15_31:                              ;   in Loop: Header=BB15_26 Depth=3
	s_or_b32 exec_lo, exec_lo, s24
	s_andn2_b32 s21, s21, exec_lo
	s_and_b32 s23, s23, exec_lo
	s_or_b32 s21, s21, s23
.LBB15_32:                              ;   in Loop: Header=BB15_26 Depth=3
	s_or_b32 exec_lo, exec_lo, s22
	s_andn2_b32 s9, s9, exec_lo
	s_and_b32 s21, s21, exec_lo
	s_or_b32 s9, s9, s21
.LBB15_33:                              ;   in Loop: Header=BB15_26 Depth=3
	s_or_b32 exec_lo, exec_lo, s20
	s_mov_b32 s20, 0
	s_and_saveexec_b32 s21, s9
	s_cbranch_execz .LBB15_24
; %bb.34:                               ;   in Loop: Header=BB15_26 Depth=3
	v_mov_b32_e32 v6, v26
	s_mov_b32 s20, exec_lo
	s_branch .LBB15_24
.LBB15_35:                              ;   in Loop: Header=BB15_13 Depth=2
	s_or_b32 exec_lo, exec_lo, s5
	v_cmp_ne_u32_e32 vcc_lo, -1, v6
	s_and_b32 exec_lo, exec_lo, vcc_lo
	s_cbranch_execz .LBB15_10
; %bb.36:                               ;   in Loop: Header=BB15_13 Depth=2
	s_mov_b32 s6, -1
	s_and_saveexec_b32 s5, s4
	s_cbranch_execz .LBB15_44
; %bb.37:                               ;   in Loop: Header=BB15_13 Depth=2
	s_movk_i32 s8, 0xe0
	s_mov_b32 s6, 0
	s_mov_b32 s22, 0
                                        ; implicit-def: $sgpr9
                                        ; implicit-def: $sgpr21
                                        ; implicit-def: $sgpr20
	s_inst_prefetch 0x1
	s_branch .LBB15_39
	.p2align	6
.LBB15_38:                              ;   in Loop: Header=BB15_39 Depth=3
	s_or_b32 exec_lo, exec_lo, s24
	s_and_b32 s24, exec_lo, s21
	v_mov_b32_e32 v7, s22
	s_or_b32 s6, s24, s6
	s_andn2_b32 s9, s9, exec_lo
	s_and_b32 s22, s20, exec_lo
	s_or_b32 s9, s9, s22
	s_mov_b32 s22, s23
	s_andn2_b32 exec_lo, exec_lo, s6
	s_cbranch_execz .LBB15_41
.LBB15_39:                              ;   Parent Loop BB15_4 Depth=1
                                        ;     Parent Loop BB15_13 Depth=2
                                        ; =>    This Inner Loop Header: Depth=3
	v_mov_b32_e32 v7, s8
	s_or_b32 s20, s20, exec_lo
	s_or_b32 s21, s21, exec_lo
	s_mov_b32 s24, exec_lo
                                        ; implicit-def: $sgpr23
	buffer_load_dword v7, v7, s[0:3], 0 offen
	s_waitcnt vmcnt(0)
	v_cmpx_ne_u32_e64 v7, v6
	s_cbranch_execz .LBB15_38
; %bb.40:                               ;   in Loop: Header=BB15_39 Depth=3
	s_add_i32 s23, s22, 1
	s_andn2_b32 s21, s21, exec_lo
	v_cmp_eq_u32_e32 vcc_lo, s23, v13
	s_add_i32 s8, s8, 4
	s_andn2_b32 s20, s20, exec_lo
	s_and_b32 s25, vcc_lo, exec_lo
	s_or_b32 s21, s21, s25
	s_branch .LBB15_38
.LBB15_41:                              ;   in Loop: Header=BB15_13 Depth=2
	s_inst_prefetch 0x2
	s_or_b32 exec_lo, exec_lo, s6
	s_mov_b32 s6, -1
	s_and_saveexec_b32 s8, s9
	s_xor_b32 s8, exec_lo, s8
	s_cbranch_execz .LBB15_43
; %bb.42:                               ;   in Loop: Header=BB15_13 Depth=2
	v_lshl_add_u32 v7, v7, 2, 0x100
	buffer_load_dword v7, v7, s[0:3], 0 offen
	s_waitcnt vmcnt(0)
	v_cmp_ne_u32_e32 vcc_lo, 0, v7
	s_orn2_b32 s6, vcc_lo, exec_lo
.LBB15_43:                              ;   in Loop: Header=BB15_13 Depth=2
	s_or_b32 exec_lo, exec_lo, s8
	s_orn2_b32 s6, s6, exec_lo
.LBB15_44:                              ;   in Loop: Header=BB15_13 Depth=2
	s_or_b32 exec_lo, exec_lo, s5
	s_and_b32 exec_lo, exec_lo, s6
	s_cbranch_execz .LBB15_10
; %bb.45:                               ;   in Loop: Header=BB15_13 Depth=2
	s_load_dwordx16 s[84:99], s[36:37], 0x8
	v_ashrrev_i32_e32 v7, 31, v6
	v_mov_b32_e32 v9, s17
	v_lshlrev_b64 v[7:8], 2, v[6:7]
	s_waitcnt lgkmcnt(0)
	v_add_co_u32 v7, vcc_lo, s94, v7
	v_add_co_ci_u32_e64 v8, null, s95, v8, vcc_lo
	global_load_dword v7, v[7:8], off
	v_mov_b32_e32 v8, s19
	buffer_store_dword v6, v8, s[0:3], 0 offen offset:16
	s_waitcnt vmcnt(0)
	buffer_store_dword v7, v9, s[0:3], 0 offen offset:16
	s_branch .LBB15_10
.LBB15_46:                              ;   in Loop: Header=BB15_4 Depth=1
	s_or_b32 exec_lo, exec_lo, s11
	s_orn2_b32 s6, s12, exec_lo
.LBB15_47:                              ;   in Loop: Header=BB15_4 Depth=1
	s_or_b32 exec_lo, exec_lo, s10
	s_mov_b32 s4, 0
	s_mov_b32 s5, s69
	s_and_saveexec_b32 s8, s6
	s_xor_b32 s38, exec_lo, s8
	s_cbranch_execz .LBB15_65
; %bb.48:                               ;   in Loop: Header=BB15_4 Depth=1
	v_readlane_b32 s4, v78, 26
	v_add_co_u32 v0, vcc_lo, s68, v0
	s_mov_b32 s87, exec_lo
	v_add_co_ci_u32_e64 v1, null, s4, v1, vcc_lo
	s_mov_b32 s4, -1
	global_load_dword v75, v[0:1], off
	s_waitcnt vmcnt(0)
	v_cmpx_lt_i32_e32 0, v75
	s_cbranch_execz .LBB15_62
; %bb.49:                               ;   in Loop: Header=BB15_4 Depth=1
	v_readlane_b32 s4, v78, 27
	v_readlane_b32 s5, v78, 28
	s_mov_b32 s84, s68
	s_mov_b32 s97, -2
	s_mov_b32 s96, 0
	s_mov_b32 s98, 0
	v_mad_i64_i32 v[59:60], null, 0x50, v42, s[4:5]
                                        ; implicit-def: $sgpr99
	s_branch .LBB15_51
.LBB15_50:                              ;   in Loop: Header=BB15_51 Depth=2
	s_or_b32 exec_lo, exec_lo, s5
	s_xor_b32 s4, s6, -1
	s_and_b32 s5, exec_lo, s100
	s_or_b32 s96, s5, s96
	s_andn2_b32 s5, s99, exec_lo
	s_and_b32 s4, s4, exec_lo
	s_or_b32 s99, s5, s4
	s_andn2_b32 exec_lo, exec_lo, s96
	s_cbranch_execz .LBB15_61
.LBB15_51:                              ;   Parent Loop BB15_4 Depth=1
                                        ; =>  This Inner Loop Header: Depth=2
	global_load_dword v43, v[59:60], off
	s_mov_b32 s100, -1
	s_mov_b32 s4, -1
	s_mov_b32 s68, exec_lo
	s_waitcnt vmcnt(0)
	v_lshl_add_u32 v0, v43, 2, 0
	buffer_load_dword v0, v0, s[0:3], 0 offen
	s_waitcnt vmcnt(0)
	v_cmpx_ne_u32_e64 v0, v44
	s_cbranch_execz .LBB15_59
; %bb.52:                               ;   in Loop: Header=BB15_51 Depth=2
	v_mov_b32_e32 v0, v43
	v_mov_b32_e32 v1, 0
	;; [unrolled: 1-line block ×7, first 2 shown]
	s_getpc_b64 s[4:5]
	s_add_u32 s4, s4, _Z4EvaliPiiPN2rw7LibraryEi@rel32@lo+4
	s_addc_u32 s5, s5, _Z4EvaliPiiPN2rw7LibraryEi@rel32@hi+12
	s_swappc_b64 s[30:31], s[4:5]
	v_lshl_add_u32 v1, v43, 2, 0x120
	s_mov_b32 s4, 0
	s_mov_b32 s5, exec_lo
	buffer_load_dword v1, v1, s[0:3], 0 offen
	s_waitcnt vmcnt(0)
	v_cmpx_ne_u32_e32 -1, v1
	s_cbranch_execz .LBB15_58
; %bb.53:                               ;   in Loop: Header=BB15_51 Depth=2
	s_load_dword s4, s[36:37], 0x68
	v_sub_nc_u32_e32 v0, v45, v0
	v_max_i32_e32 v3, 0, v76
	s_waitcnt lgkmcnt(0)
	v_or_b32_e32 v2, s4, v0
	v_cmp_le_i32_e64 s4, v3, v0
	v_cmp_ne_u32_e32 vcc_lo, 0, v2
	s_and_b32 s4, s4, vcc_lo
	s_and_saveexec_b32 s6, s4
	s_cbranch_execz .LBB15_57
; %bb.54:                               ;   in Loop: Header=BB15_51 Depth=2
	v_cmp_ne_u32_e32 vcc_lo, v0, v76
	v_cmp_lt_i32_e64 s4, v1, v73
	s_or_b32 s7, vcc_lo, s4
	s_and_saveexec_b32 s4, s7
; %bb.55:                               ;   in Loop: Header=BB15_51 Depth=2
	v_mov_b32_e32 v63, s103
	v_mov_b32_e32 v62, s98
	;; [unrolled: 1-line block ×4, first 2 shown]
; %bb.56:                               ;   in Loop: Header=BB15_51 Depth=2
	s_or_b32 exec_lo, exec_lo, s4
.LBB15_57:                              ;   in Loop: Header=BB15_51 Depth=2
	s_or_b32 exec_lo, exec_lo, s6
	s_mov_b32 s4, exec_lo
.LBB15_58:                              ;   in Loop: Header=BB15_51 Depth=2
	s_or_b32 exec_lo, exec_lo, s5
	s_orn2_b32 s4, s4, exec_lo
.LBB15_59:                              ;   in Loop: Header=BB15_51 Depth=2
	s_or_b32 exec_lo, exec_lo, s68
	s_mov_b32 s6, -1
	s_and_saveexec_b32 s5, s4
	s_cbranch_execz .LBB15_50
; %bb.60:                               ;   in Loop: Header=BB15_51 Depth=2
	s_add_i32 s98, s98, 1
	v_add_co_u32 v59, s4, v59, 4
	v_cmp_eq_u32_e32 vcc_lo, s98, v75
	v_add_co_ci_u32_e64 v60, null, 0, v60, s4
	s_add_i32 s97, s97, -1
	s_xor_b32 s6, exec_lo, -1
	s_orn2_b32 s100, vcc_lo, exec_lo
	s_branch .LBB15_50
.LBB15_61:                              ;   in Loop: Header=BB15_4 Depth=1
	s_or_b32 exec_lo, exec_lo, s96
	s_orn2_b32 s4, s99, exec_lo
	s_mov_b32 s68, s84
.LBB15_62:                              ;   in Loop: Header=BB15_4 Depth=1
	s_or_b32 exec_lo, exec_lo, s87
	s_mov_b32 s5, s69
	s_and_saveexec_b32 s6, s4
	s_cbranch_execz .LBB15_64
; %bb.63:                               ;   in Loop: Header=BB15_4 Depth=1
	global_load_dword v0, v[40:41], off offset:20
	v_lshlrev_b32_e32 v1, 27, v77
	s_or_b32 s5, s69, exec_lo
	s_waitcnt vmcnt(0)
	v_and_or_b32 v0, 0x87ffffff, v0, v1
	global_store_dword v[40:41], v0, off offset:20
.LBB15_64:                              ;   in Loop: Header=BB15_4 Depth=1
	s_or_b32 exec_lo, exec_lo, s6
	s_andn2_b32 s6, s69, exec_lo
	s_and_b32 s5, s5, exec_lo
	s_mov_b32 s4, exec_lo
	s_xor_b32 s7, exec_lo, -1
	s_or_b32 s5, s6, s5
.LBB15_65:                              ;   in Loop: Header=BB15_4 Depth=1
	s_or_b32 exec_lo, exec_lo, s38
	s_andn2_b32 s6, s69, exec_lo
	s_and_b32 s5, s5, exec_lo
	s_or_b32 s69, s6, s5
.LBB15_66:                              ;   in Loop: Header=BB15_4 Depth=1
	s_or_b32 exec_lo, exec_lo, s71
	s_orn2_b32 s5, s69, exec_lo
.LBB15_67:                              ;   in Loop: Header=BB15_4 Depth=1
	s_or_b32 exec_lo, exec_lo, s54
	s_andn2_b32 s8, s83, exec_lo
	s_and_b32 s4, s4, exec_lo
	s_andn2_b32 s9, s70, exec_lo
	s_and_b32 s7, s7, exec_lo
	s_mov_b32 s6, -1
	s_or_b32 s83, s8, s4
	s_or_b32 s70, s9, s7
	s_and_saveexec_b32 s4, s5
	s_cbranch_execz .LBB15_3
; %bb.68:                               ;   in Loop: Header=BB15_4 Depth=1
	s_add_i32 s103, s103, 1
	s_cmp_eq_u32 s103, 8
	s_cselect_b32 s5, -1, 0
	s_andn2_b32 s83, s83, exec_lo
	s_andn2_b32 s70, s70, exec_lo
	s_orn2_b32 s6, s5, exec_lo
	s_branch .LBB15_3
.LBB15_69:
	s_or_b32 exec_lo, exec_lo, s101
	s_xor_b32 s4, s102, -1
	s_xor_b32 s5, s104, -1
	s_mov_b32 s26, 0
	s_and_saveexec_b32 s6, s5
	v_readlane_b32 s27, v78, 16
	s_xor_b32 s25, exec_lo, s6
	s_cbranch_execnz .LBB15_77
; %bb.70:
	s_andn2_saveexec_b32 s25, s25
	s_cbranch_execnz .LBB15_88
.LBB15_71:
	s_or_b32 exec_lo, exec_lo, s25
	s_and_saveexec_b32 s4, s26
.LBB15_72:
	; divergent unreachable
.LBB15_73:
	s_or_b32 exec_lo, exec_lo, s4
                                        ; implicit-def: $vgpr46_vgpr47
.LBB15_74:
	s_andn2_saveexec_b32 s4, s27
	s_cbranch_execz .LBB15_76
; %bb.75:
	v_readlane_b32 s4, v78, 0
	v_readlane_b32 s18, v78, 14
	;; [unrolled: 1-line block ×3, first 2 shown]
	v_mov_b32_e32 v2, 0
	v_readlane_b32 s5, v78, 1
	v_readlane_b32 s6, v78, 2
	;; [unrolled: 1-line block ×3, first 2 shown]
	v_mad_i64_i32 v[0:1], null, v46, 28, s[18:19]
	v_readlane_b32 s8, v78, 4
	v_readlane_b32 s9, v78, 5
	;; [unrolled: 1-line block ×10, first 2 shown]
	global_store_byte v[0:1], v2, off offset:52
.LBB15_76:
	s_endpgm
.LBB15_77:
	s_and_saveexec_b32 s5, s4
	s_xor_b32 s4, exec_lo, s5
	s_cbranch_execz .LBB15_85
; %bb.78:
	s_mov_b32 s5, exec_lo
	v_cmpx_ne_u32_e32 -1, v63
	s_xor_b32 s5, exec_lo, s5
	s_cbranch_execz .LBB15_82
; %bb.79:
	s_mov_b32 s7, exec_lo
	s_mov_b32 s6, exec_lo
	v_mbcnt_lo_u32_b32 v0, s7, 0
	v_cmpx_eq_u32_e32 0, v0
	s_cbranch_execz .LBB15_81
; %bb.80:
	v_mov_b32_e32 v0, 0
	s_getpc_b64 s[8:9]
	s_add_u32 s8, s8, GPUexpected@rel32@lo+4
	s_addc_u32 s9, s9, GPUexpected@rel32@hi+12
	s_bcnt1_i32_b32 s7, s7
	v_mov_b32_e32 v2, s7
	global_load_dwordx2 v[0:1], v0, s[8:9]
	s_waitcnt vmcnt(0)
	global_atomic_add v[0:1], v2, off
.LBB15_81:
	s_or_b32 exec_lo, exec_lo, s6
	s_load_dwordx16 s[8:23], s[36:37], 0x8
	v_add_nc_u32_e32 v0, v63, v47
	v_mov_b32_e32 v12, 1
	s_waitcnt lgkmcnt(0)
	v_mad_i64_i32 v[4:5], null, v0, 28, s[20:21]
	v_mad_i64_i32 v[8:9], null, v46, 28, s[22:23]
	v_add_co_u32 v10, vcc_lo, s8, v56
	v_add_co_ci_u32_e64 v11, null, s9, v57, vcc_lo
	s_clause 0x1
	global_load_dwordx4 v[0:3], v[4:5], off offset:12
	global_load_dwordx4 v[4:7], v[4:5], off
                                        ; implicit-def: $vgpr46_vgpr47
	s_waitcnt vmcnt(1)
	global_store_dwordx4 v[8:9], v[0:3], off offset:40
	s_waitcnt vmcnt(0)
	global_store_dwordx4 v[8:9], v[4:7], off offset:28
	global_store_byte v[8:9], v12, off offset:52
	global_store_dword v[10:11], v62, off offset:4
.LBB15_82:
	s_andn2_saveexec_b32 s5, s5
	s_cbranch_execz .LBB15_84
; %bb.83:
	s_load_dwordx16 s[8:23], s[36:37], 0x8
	v_mov_b32_e32 v2, 0
	s_waitcnt lgkmcnt(0)
	v_mad_i64_i32 v[0:1], null, v46, 28, s[22:23]
	global_store_byte v[0:1], v2, off offset:52
.LBB15_84:
	s_or_b32 exec_lo, exec_lo, s5
.LBB15_85:
	s_or_saveexec_b32 s26, s4
	s_mov_b32 s4, 0
	s_xor_b32 exec_lo, exec_lo, s26
	s_cbranch_execz .LBB15_87
; %bb.86:
	s_add_u32 s8, s36, 0x70
	s_addc_u32 s9, s37, 0
	s_getpc_b64 s[4:5]
	s_add_u32 s4, s4, .str.2@rel32@lo+4
	s_addc_u32 s5, s5, .str.2@rel32@hi+12
	s_getpc_b64 s[6:7]
	s_add_u32 s6, s6, __PRETTY_FUNCTION__._Z16EvaluateNodeWaveiPiS_S_S_S_S_PN2rw3CutES2_S_PNS0_7LibraryEPNS0_9TableNodeEPKii@rel32@lo+4
	s_addc_u32 s7, s7, __PRETTY_FUNCTION__._Z16EvaluateNodeWaveiPiS_S_S_S_S_PN2rw3CutES2_S_PNS0_7LibraryEPNS0_9TableNodeEPKii@rel32@hi+12
	v_mov_b32_e32 v0, s4
	v_mov_b32_e32 v1, s5
	;; [unrolled: 1-line block ×5, first 2 shown]
	s_getpc_b64 s[10:11]
	s_add_u32 s10, s10, __assert_fail@rel32@lo+4
	s_addc_u32 s11, s11, __assert_fail@rel32@hi+12
	s_swappc_b64 s[30:31], s[10:11]
	s_mov_b32 s4, exec_lo
.LBB15_87:
	s_or_b32 exec_lo, exec_lo, s26
	s_and_b32 s26, s4, exec_lo
	s_andn2_saveexec_b32 s25, s25
	s_cbranch_execz .LBB15_71
.LBB15_88:
	s_add_u32 s8, s36, 0x70
	s_addc_u32 s9, s37, 0
	s_getpc_b64 s[4:5]
	s_add_u32 s4, s4, .str@rel32@lo+4
	s_addc_u32 s5, s5, .str@rel32@hi+12
	s_getpc_b64 s[6:7]
	s_add_u32 s6, s6, __PRETTY_FUNCTION__._Z16EvaluateNodeWaveiPiS_S_S_S_S_PN2rw3CutES2_S_PNS0_7LibraryEPNS0_9TableNodeEPKii@rel32@lo+4
	s_addc_u32 s7, s7, __PRETTY_FUNCTION__._Z16EvaluateNodeWaveiPiS_S_S_S_S_PN2rw3CutES2_S_PNS0_7LibraryEPNS0_9TableNodeEPKii@rel32@hi+12
	v_mov_b32_e32 v0, s4
	v_mov_b32_e32 v1, s5
	;; [unrolled: 1-line block ×5, first 2 shown]
	s_getpc_b64 s[10:11]
	s_add_u32 s10, s10, __assert_fail@rel32@lo+4
	s_addc_u32 s11, s11, __assert_fail@rel32@hi+12
	s_swappc_b64 s[30:31], s[10:11]
	s_or_b32 s26, s26, exec_lo
	s_or_b32 exec_lo, exec_lo, s25
	s_and_saveexec_b32 s4, s26
	s_cbranch_execnz .LBB15_72
	s_branch .LBB15_73
	.section	.rodata,"a",@progbits
	.p2align	6, 0x0
	.amdhsa_kernel _Z16EvaluateNodeWaveiPiS_S_S_S_S_PN2rw3CutES2_S_PNS0_7LibraryEPNS0_9TableNodeEPKii
		.amdhsa_group_segment_fixed_size 0
		.amdhsa_private_segment_fixed_size 608
		.amdhsa_kernarg_size 368
		.amdhsa_user_sgpr_count 8
		.amdhsa_user_sgpr_private_segment_buffer 1
		.amdhsa_user_sgpr_dispatch_ptr 0
		.amdhsa_user_sgpr_queue_ptr 0
		.amdhsa_user_sgpr_kernarg_segment_ptr 1
		.amdhsa_user_sgpr_dispatch_id 0
		.amdhsa_user_sgpr_flat_scratch_init 1
		.amdhsa_user_sgpr_private_segment_size 0
		.amdhsa_wavefront_size32 1
		.amdhsa_uses_dynamic_stack 1
		.amdhsa_system_sgpr_private_segment_wavefront_offset 1
		.amdhsa_system_sgpr_workgroup_id_x 1
		.amdhsa_system_sgpr_workgroup_id_y 0
		.amdhsa_system_sgpr_workgroup_id_z 0
		.amdhsa_system_sgpr_workgroup_info 0
		.amdhsa_system_vgpr_workitem_id 0
		.amdhsa_next_free_vgpr 79
		.amdhsa_next_free_sgpr 105
		.amdhsa_reserve_vcc 1
		.amdhsa_reserve_flat_scratch 1
		.amdhsa_float_round_mode_32 0
		.amdhsa_float_round_mode_16_64 0
		.amdhsa_float_denorm_mode_32 3
		.amdhsa_float_denorm_mode_16_64 3
		.amdhsa_dx10_clamp 1
		.amdhsa_ieee_mode 1
		.amdhsa_fp16_overflow 0
		.amdhsa_workgroup_processor_mode 1
		.amdhsa_memory_ordered 1
		.amdhsa_forward_progress 1
		.amdhsa_shared_vgpr_count 0
		.amdhsa_exception_fp_ieee_invalid_op 0
		.amdhsa_exception_fp_denorm_src 0
		.amdhsa_exception_fp_ieee_div_zero 0
		.amdhsa_exception_fp_ieee_overflow 0
		.amdhsa_exception_fp_ieee_underflow 0
		.amdhsa_exception_fp_ieee_inexact 0
		.amdhsa_exception_int_div_zero 0
	.end_amdhsa_kernel
	.text
.Lfunc_end15:
	.size	_Z16EvaluateNodeWaveiPiS_S_S_S_S_PN2rw3CutES2_S_PNS0_7LibraryEPNS0_9TableNodeEPKii, .Lfunc_end15-_Z16EvaluateNodeWaveiPiS_S_S_S_S_PN2rw3CutES2_S_PNS0_7LibraryEPNS0_9TableNodeEPKii
                                        ; -- End function
	.set _Z16EvaluateNodeWaveiPiS_S_S_S_S_PN2rw3CutES2_S_PNS0_7LibraryEPNS0_9TableNodeEPKii.num_vgpr, max(79, .L_Z8CalcMFFCiPN2rw3CutEPiS2_S2_S2_S2_S2_i.num_vgpr, .L_Z4EvaliPiiPN2rw7LibraryEi.num_vgpr, .L__assert_fail.num_vgpr)
	.set _Z16EvaluateNodeWaveiPiS_S_S_S_S_PN2rw3CutES2_S_PNS0_7LibraryEPNS0_9TableNodeEPKii.num_agpr, max(0, .L_Z8CalcMFFCiPN2rw3CutEPiS2_S2_S2_S2_S2_i.num_agpr, .L_Z4EvaliPiiPN2rw7LibraryEi.num_agpr, .L__assert_fail.num_agpr)
	.set _Z16EvaluateNodeWaveiPiS_S_S_S_S_PN2rw3CutES2_S_PNS0_7LibraryEPNS0_9TableNodeEPKii.numbered_sgpr, max(105, .L_Z8CalcMFFCiPN2rw3CutEPiS2_S2_S2_S2_S2_i.numbered_sgpr, .L_Z4EvaliPiiPN2rw7LibraryEi.numbered_sgpr, .L__assert_fail.numbered_sgpr)
	.set _Z16EvaluateNodeWaveiPiS_S_S_S_S_PN2rw3CutES2_S_PNS0_7LibraryEPNS0_9TableNodeEPKii.num_named_barrier, max(0, .L_Z8CalcMFFCiPN2rw3CutEPiS2_S2_S2_S2_S2_i.num_named_barrier, .L_Z4EvaliPiiPN2rw7LibraryEi.num_named_barrier, .L__assert_fail.num_named_barrier)
	.set _Z16EvaluateNodeWaveiPiS_S_S_S_S_PN2rw3CutES2_S_PNS0_7LibraryEPNS0_9TableNodeEPKii.private_seg_size, 512+max(.L_Z8CalcMFFCiPN2rw3CutEPiS2_S2_S2_S2_S2_i.private_seg_size, .L_Z4EvaliPiiPN2rw7LibraryEi.private_seg_size, .L__assert_fail.private_seg_size)
	.set _Z16EvaluateNodeWaveiPiS_S_S_S_S_PN2rw3CutES2_S_PNS0_7LibraryEPNS0_9TableNodeEPKii.uses_vcc, or(1, .L_Z8CalcMFFCiPN2rw3CutEPiS2_S2_S2_S2_S2_i.uses_vcc, .L_Z4EvaliPiiPN2rw7LibraryEi.uses_vcc, .L__assert_fail.uses_vcc)
	.set _Z16EvaluateNodeWaveiPiS_S_S_S_S_PN2rw3CutES2_S_PNS0_7LibraryEPNS0_9TableNodeEPKii.uses_flat_scratch, or(1, .L_Z8CalcMFFCiPN2rw3CutEPiS2_S2_S2_S2_S2_i.uses_flat_scratch, .L_Z4EvaliPiiPN2rw7LibraryEi.uses_flat_scratch, .L__assert_fail.uses_flat_scratch)
	.set _Z16EvaluateNodeWaveiPiS_S_S_S_S_PN2rw3CutES2_S_PNS0_7LibraryEPNS0_9TableNodeEPKii.has_dyn_sized_stack, or(0, .L_Z8CalcMFFCiPN2rw3CutEPiS2_S2_S2_S2_S2_i.has_dyn_sized_stack, .L_Z4EvaliPiiPN2rw7LibraryEi.has_dyn_sized_stack, .L__assert_fail.has_dyn_sized_stack)
	.set _Z16EvaluateNodeWaveiPiS_S_S_S_S_PN2rw3CutES2_S_PNS0_7LibraryEPNS0_9TableNodeEPKii.has_recursion, or(1, .L_Z8CalcMFFCiPN2rw3CutEPiS2_S2_S2_S2_S2_i.has_recursion, .L_Z4EvaliPiiPN2rw7LibraryEi.has_recursion, .L__assert_fail.has_recursion)
	.set _Z16EvaluateNodeWaveiPiS_S_S_S_S_PN2rw3CutES2_S_PNS0_7LibraryEPNS0_9TableNodeEPKii.has_indirect_call, or(0, .L_Z8CalcMFFCiPN2rw3CutEPiS2_S2_S2_S2_S2_i.has_indirect_call, .L_Z4EvaliPiiPN2rw7LibraryEi.has_indirect_call, .L__assert_fail.has_indirect_call)
	.section	.AMDGPU.csdata,"",@progbits
; Kernel info:
; codeLenInByte = 5952
; TotalNumSgprs: 107
; NumVgprs: 79
; ScratchSize: 608
; MemoryBound: 0
; FloatMode: 240
; IeeeMode: 1
; LDSByteSize: 0 bytes/workgroup (compile time only)
; SGPRBlocks: 0
; VGPRBlocks: 9
; NumSGPRsForWavesPerEU: 107
; NumVGPRsForWavesPerEU: 79
; Occupancy: 12
; WaveLimiterHint : 1
; COMPUTE_PGM_RSRC2:SCRATCH_EN: 1
; COMPUTE_PGM_RSRC2:USER_SGPR: 8
; COMPUTE_PGM_RSRC2:TRAP_HANDLER: 0
; COMPUTE_PGM_RSRC2:TGID_X_EN: 1
; COMPUTE_PGM_RSRC2:TGID_Y_EN: 0
; COMPUTE_PGM_RSRC2:TGID_Z_EN: 0
; COMPUTE_PGM_RSRC2:TIDIG_COMP_CNT: 0
	.text
	.p2alignl 6, 3214868480
	.fill 48, 4, 3214868480
	.section	.AMDGPU.gpr_maximums,"",@progbits
	.set amdgpu.max_num_vgpr, 91
	.set amdgpu.max_num_agpr, 0
	.set amdgpu.max_num_sgpr, 38
	.text
	.type	__const.__assert_fail.fmt,@object ; @__const.__assert_fail.fmt
	.section	.rodata.str1.16,"aMS",@progbits,1
	.p2align	4, 0x0
__const.__assert_fail.fmt:
	.asciz	"%s:%u: %s: Device-side assertion `%s' failed.\n"
	.size	__const.__assert_fail.fmt, 47

	.protected	P.managed               ; @P.managed
	.type	P.managed,@object
	.section	.bss,"aw",@nobits
	.globl	P.managed
	.p2align	2, 0x0
P.managed:
	.long	0                               ; 0x0
	.size	P.managed, 4

	.protected	N.managed               ; @N.managed
	.type	N.managed,@object
	.globl	N.managed
	.p2align	2, 0x0
N.managed:
	.long	0                               ; 0x0
	.size	N.managed, 4

	.protected	GPUexpected.managed     ; @GPUexpected.managed
	.type	GPUexpected.managed,@object
	.globl	GPUexpected.managed
	.p2align	2, 0x0
GPUexpected.managed:
	.long	0                               ; 0x0
	.size	GPUexpected.managed, 4

	.protected	replaceHasFullCorrsp.managed ; @replaceHasFullCorrsp.managed
	.type	replaceHasFullCorrsp.managed,@object
	.globl	replaceHasFullCorrsp.managed
	.p2align	2, 0x0
replaceHasFullCorrsp.managed:
	.long	0                               ; 0x0
	.size	replaceHasFullCorrsp.managed, 4

	.type	__const._Z18MinimizeCutSupportPN2rw3CutE.masks,@object ; @__const._Z18MinimizeCutSupportPN2rw3CutE.masks
	.section	.rodata.cst32,"aM",@progbits,32
	.p2align	4, 0x0
__const._Z18MinimizeCutSupportPN2rw3CutE.masks:
	.long	21845                           ; 0x5555
	.long	43690                           ; 0xaaaa
	.long	13107                           ; 0x3333
	.long	52428                           ; 0xcccc
	.long	3855                            ; 0xf0f
	.long	61680                           ; 0xf0f0
	.long	255                             ; 0xff
	.long	65280                           ; 0xff00
	.size	__const._Z18MinimizeCutSupportPN2rw3CutE.masks, 32

	.type	.str,@object                    ; @.str
	.section	.rodata.str1.1,"aMS",@progbits,1
.str:
	.asciz	"matchLevel[in0] != -1 && matchLevel[in1] != -1"
	.size	.str, 47

	.type	.str.1,@object                  ; @.str.1
.str.1:
	.asciz	"/root/src/amdgpu-assembly/repos/zjin-lcf__HeCBench/src/logic-rewrite-hip/rewrite.cu"
	.size	.str.1, 84

	.type	__PRETTY_FUNCTION__._Z12EvaluateNodeiPiS_S_S_S_S_PN2rw3CutES2_S_PNS0_7LibraryEPNS0_9TableNodeEi,@object ; @__PRETTY_FUNCTION__._Z12EvaluateNodeiPiS_S_S_S_S_PN2rw3CutES2_S_PNS0_7LibraryEPNS0_9TableNodeEi
__PRETTY_FUNCTION__._Z12EvaluateNodeiPiS_S_S_S_S_PN2rw3CutES2_S_PNS0_7LibraryEPNS0_9TableNodeEi:
	.asciz	"void EvaluateNode(int, int *, int *, int *, int *, int *, int *, Cut *, Cut *, int *, Library *, TableNode *, int)"
	.size	__PRETTY_FUNCTION__._Z12EvaluateNodeiPiS_S_S_S_S_PN2rw3CutES2_S_PNS0_7LibraryEPNS0_9TableNodeEi, 115

	.type	.str.2,@object                  ; @.str.2
.str.2:
	.asciz	"rtLevel != -1"
	.size	.str.2, 14

	.type	.str.3,@object                  ; @.str.3
.str.3:
	.asciz	"cut#%d details: truthtable %d, used%d, nLeaves=%d, leaves=%d %d %d %d\n"
	.size	.str.3, 71

	.type	.str.4,@object                  ; @.str.4
.str.4:
	.asciz	"Selected %d: %d %d\n"
	.size	.str.4, 20

	.type	__PRETTY_FUNCTION__._Z16EvaluateNodeWaveiPiS_S_S_S_S_PN2rw3CutES2_S_PNS0_7LibraryEPNS0_9TableNodeEPKii,@object ; @__PRETTY_FUNCTION__._Z16EvaluateNodeWaveiPiS_S_S_S_S_PN2rw3CutES2_S_PNS0_7LibraryEPNS0_9TableNodeEPKii
__PRETTY_FUNCTION__._Z16EvaluateNodeWaveiPiS_S_S_S_S_PN2rw3CutES2_S_PNS0_7LibraryEPNS0_9TableNodeEPKii:
	.asciz	"void EvaluateNodeWave(int, int *, int *, int *, int *, int *, int *, Cut *, Cut *, int *, Library *, TableNode *, const int *, int)"
	.size	__PRETTY_FUNCTION__._Z16EvaluateNodeWaveiPiS_S_S_S_S_PN2rw3CutES2_S_PNS0_7LibraryEPNS0_9TableNodeEPKii, 132

	.protected	P                       ; @P
	.type	P,@object
	.section	.bss,"aw",@nobits
	.globl	P
	.p2align	3, 0x0
P:
	.quad	0
	.size	P, 8

	.protected	N                       ; @N
	.type	N,@object
	.globl	N
	.p2align	3, 0x0
N:
	.quad	0
	.size	N, 8

	.protected	GPUexpected             ; @GPUexpected
	.type	GPUexpected,@object
	.globl	GPUexpected
	.p2align	3, 0x0
GPUexpected:
	.quad	0
	.size	GPUexpected, 8

	.protected	replaceHasFullCorrsp    ; @replaceHasFullCorrsp
	.type	replaceHasFullCorrsp,@object
	.globl	replaceHasFullCorrsp
	.p2align	3, 0x0
replaceHasFullCorrsp:
	.quad	0
	.size	replaceHasFullCorrsp, 8

	.type	__hip_cuid_8b9b6a9201f8282c,@object ; @__hip_cuid_8b9b6a9201f8282c
	.globl	__hip_cuid_8b9b6a9201f8282c
__hip_cuid_8b9b6a9201f8282c:
	.byte	0                               ; 0x0
	.size	__hip_cuid_8b9b6a9201f8282c, 1

	.ident	"AMD clang version 22.0.0git (https://github.com/RadeonOpenCompute/llvm-project roc-7.2.4 26084 f58b06dce1f9c15707c5f808fd002e18c2accf7e)"
	.section	".note.GNU-stack","",@progbits
	.addrsig
	.addrsig_sym P.managed
	.addrsig_sym N.managed
	.addrsig_sym GPUexpected.managed
	.addrsig_sym replaceHasFullCorrsp.managed
	.addrsig_sym P
	.addrsig_sym N
	.addrsig_sym GPUexpected
	.addrsig_sym replaceHasFullCorrsp
	.addrsig_sym __hip_cuid_8b9b6a9201f8282c
	.amdgpu_metadata
---
amdhsa.kernels:
  - .args:
      - .address_space:  global
        .offset:         0
        .size:           8
        .value_kind:     global_buffer
      - .address_space:  global
        .offset:         8
        .size:           8
        .value_kind:     global_buffer
      - .offset:         16
        .size:           4
        .value_kind:     by_value
      - .offset:         24
        .size:           4
        .value_kind:     hidden_block_count_x
      - .offset:         28
        .size:           4
        .value_kind:     hidden_block_count_y
      - .offset:         32
        .size:           4
        .value_kind:     hidden_block_count_z
      - .offset:         36
        .size:           2
        .value_kind:     hidden_group_size_x
      - .offset:         38
        .size:           2
        .value_kind:     hidden_group_size_y
      - .offset:         40
        .size:           2
        .value_kind:     hidden_group_size_z
      - .offset:         42
        .size:           2
        .value_kind:     hidden_remainder_x
      - .offset:         44
        .size:           2
        .value_kind:     hidden_remainder_y
      - .offset:         46
        .size:           2
        .value_kind:     hidden_remainder_z
      - .offset:         64
        .size:           8
        .value_kind:     hidden_global_offset_x
      - .offset:         72
        .size:           8
        .value_kind:     hidden_global_offset_y
      - .offset:         80
        .size:           8
        .value_kind:     hidden_global_offset_z
      - .offset:         88
        .size:           2
        .value_kind:     hidden_grid_dims
    .group_segment_fixed_size: 0
    .kernarg_segment_align: 8
    .kernarg_segment_size: 280
    .language:       OpenCL C
    .language_version:
      - 2
      - 0
    .max_flat_workgroup_size: 1024
    .name:           _Z6InputsPiPN2rw3CutEi
    .private_segment_fixed_size: 0
    .sgpr_count:     7
    .sgpr_spill_count: 0
    .symbol:         _Z6InputsPiPN2rw3CutEi.kd
    .uniform_work_group_size: 1
    .uses_dynamic_stack: false
    .vgpr_count:     6
    .vgpr_spill_count: 0
    .wavefront_size: 32
    .workgroup_processor_mode: 1
  - .args:
      - .address_space:  global
        .offset:         0
        .size:           8
        .value_kind:     global_buffer
      - .address_space:  global
        .offset:         8
        .size:           8
        .value_kind:     global_buffer
      - .address_space:  global
        .offset:         16
        .size:           8
        .value_kind:     global_buffer
      - .address_space:  global
        .offset:         24
        .size:           8
        .value_kind:     global_buffer
      - .address_space:  global
        .offset:         32
        .size:           8
        .value_kind:     global_buffer
      - .address_space:  global
        .offset:         40
        .size:           8
        .value_kind:     global_buffer
      - .offset:         48
        .size:           4
        .value_kind:     by_value
      - .offset:         52
        .size:           4
        .value_kind:     by_value
      - .offset:         56
        .size:           4
        .value_kind:     hidden_block_count_x
      - .offset:         60
        .size:           4
        .value_kind:     hidden_block_count_y
      - .offset:         64
        .size:           4
        .value_kind:     hidden_block_count_z
      - .offset:         68
        .size:           2
        .value_kind:     hidden_group_size_x
      - .offset:         70
        .size:           2
        .value_kind:     hidden_group_size_y
      - .offset:         72
        .size:           2
        .value_kind:     hidden_group_size_z
      - .offset:         74
        .size:           2
        .value_kind:     hidden_remainder_x
      - .offset:         76
        .size:           2
        .value_kind:     hidden_remainder_y
      - .offset:         78
        .size:           2
        .value_kind:     hidden_remainder_z
      - .offset:         96
        .size:           8
        .value_kind:     hidden_global_offset_x
      - .offset:         104
        .size:           8
        .value_kind:     hidden_global_offset_y
      - .offset:         112
        .size:           8
        .value_kind:     hidden_global_offset_z
      - .offset:         120
        .size:           2
        .value_kind:     hidden_grid_dims
    .group_segment_fixed_size: 60416
    .kernarg_segment_align: 8
    .kernarg_segment_size: 312
    .language:       OpenCL C
    .language_version:
      - 2
      - 0
    .max_flat_workgroup_size: 1024
    .name:           _Z12CutEnumeratePiS_S_S_S_PN2rw3CutEii
    .private_segment_fixed_size: 340
    .sgpr_count:     49
    .sgpr_spill_count: 0
    .symbol:         _Z12CutEnumeratePiS_S_S_S_PN2rw3CutEii.kd
    .uniform_work_group_size: 1
    .uses_dynamic_stack: false
    .vgpr_count:     53
    .vgpr_spill_count: 0
    .wavefront_size: 32
    .workgroup_processor_mode: 1
  - .args:
      - .offset:         0
        .size:           4
        .value_kind:     by_value
      - .address_space:  global
        .offset:         8
        .size:           8
        .value_kind:     global_buffer
      - .address_space:  global
        .offset:         16
        .size:           8
        .value_kind:     global_buffer
      - .address_space:  global
        .offset:         24
        .size:           8
        .value_kind:     global_buffer
      - .address_space:  global
        .offset:         32
        .size:           8
        .value_kind:     global_buffer
      - .address_space:  global
        .offset:         40
        .size:           8
        .value_kind:     global_buffer
      - .address_space:  global
        .offset:         48
        .size:           8
        .value_kind:     global_buffer
      - .address_space:  global
        .offset:         56
        .size:           8
        .value_kind:     global_buffer
      - .address_space:  global
        .offset:         64
        .size:           8
        .value_kind:     global_buffer
      - .address_space:  global
        .offset:         72
        .size:           8
        .value_kind:     global_buffer
      - .address_space:  global
        .offset:         80
        .size:           8
        .value_kind:     global_buffer
      - .address_space:  global
        .offset:         88
        .size:           8
        .value_kind:     global_buffer
      - .offset:         96
        .size:           4
        .value_kind:     by_value
      - .offset:         104
        .size:           4
        .value_kind:     hidden_block_count_x
      - .offset:         108
        .size:           4
        .value_kind:     hidden_block_count_y
      - .offset:         112
        .size:           4
        .value_kind:     hidden_block_count_z
      - .offset:         116
        .size:           2
        .value_kind:     hidden_group_size_x
      - .offset:         118
        .size:           2
        .value_kind:     hidden_group_size_y
      - .offset:         120
        .size:           2
        .value_kind:     hidden_group_size_z
      - .offset:         122
        .size:           2
        .value_kind:     hidden_remainder_x
      - .offset:         124
        .size:           2
        .value_kind:     hidden_remainder_y
      - .offset:         126
        .size:           2
        .value_kind:     hidden_remainder_z
      - .offset:         144
        .size:           8
        .value_kind:     hidden_global_offset_x
      - .offset:         152
        .size:           8
        .value_kind:     hidden_global_offset_y
      - .offset:         160
        .size:           8
        .value_kind:     hidden_global_offset_z
      - .offset:         168
        .size:           2
        .value_kind:     hidden_grid_dims
      - .offset:         184
        .size:           8
        .value_kind:     hidden_hostcall_buffer
    .group_segment_fixed_size: 0
    .kernarg_segment_align: 8
    .kernarg_segment_size: 360
    .language:       OpenCL C
    .language_version:
      - 2
      - 0
    .max_flat_workgroup_size: 1024
    .name:           _Z12EvaluateNodeiPiS_S_S_S_S_PN2rw3CutES2_S_PNS0_7LibraryEPNS0_9TableNodeEi
    .private_segment_fixed_size: 608
    .sgpr_count:     107
    .sgpr_spill_count: 31
    .symbol:         _Z12EvaluateNodeiPiS_S_S_S_S_PN2rw3CutES2_S_PNS0_7LibraryEPNS0_9TableNodeEi.kd
    .uniform_work_group_size: 1
    .uses_dynamic_stack: true
    .vgpr_count:     77
    .vgpr_spill_count: 0
    .wavefront_size: 32
    .workgroup_processor_mode: 1
  - .args:
      - .address_space:  global
        .offset:         0
        .size:           8
        .value_kind:     global_buffer
      - .offset:         8
        .size:           4
        .value_kind:     by_value
      - .address_space:  global
        .offset:         16
        .size:           8
        .value_kind:     global_buffer
      - .address_space:  global
        .offset:         24
        .size:           8
        .value_kind:     global_buffer
      - .address_space:  global
        .offset:         32
        .size:           8
        .value_kind:     global_buffer
      - .address_space:  global
        .offset:         40
        .size:           8
        .value_kind:     global_buffer
      - .offset:         48
        .size:           4
        .value_kind:     hidden_block_count_x
      - .offset:         52
        .size:           4
        .value_kind:     hidden_block_count_y
      - .offset:         56
        .size:           4
        .value_kind:     hidden_block_count_z
      - .offset:         60
        .size:           2
        .value_kind:     hidden_group_size_x
      - .offset:         62
        .size:           2
        .value_kind:     hidden_group_size_y
      - .offset:         64
        .size:           2
        .value_kind:     hidden_group_size_z
      - .offset:         66
        .size:           2
        .value_kind:     hidden_remainder_x
      - .offset:         68
        .size:           2
        .value_kind:     hidden_remainder_y
      - .offset:         70
        .size:           2
        .value_kind:     hidden_remainder_z
      - .offset:         88
        .size:           8
        .value_kind:     hidden_global_offset_x
      - .offset:         96
        .size:           8
        .value_kind:     hidden_global_offset_y
      - .offset:         104
        .size:           8
        .value_kind:     hidden_global_offset_z
      - .offset:         112
        .size:           2
        .value_kind:     hidden_grid_dims
    .group_segment_fixed_size: 0
    .kernarg_segment_align: 8
    .kernarg_segment_size: 304
    .language:       OpenCL C
    .language_version:
      - 2
      - 0
    .max_flat_workgroup_size: 1024
    .name:           _Z14BuildHashTablePN2rw9TableNodeEiPiS2_S2_S2_
    .private_segment_fixed_size: 0
    .sgpr_count:     18
    .sgpr_spill_count: 0
    .symbol:         _Z14BuildHashTablePN2rw9TableNodeEiPiS2_S2_S2_.kd
    .uniform_work_group_size: 1
    .uses_dynamic_stack: false
    .vgpr_count:     10
    .vgpr_spill_count: 0
    .wavefront_size: 32
    .workgroup_processor_mode: 1
  - .args:
      - .offset:         0
        .size:           4
        .value_kind:     by_value
      - .address_space:  global
        .offset:         8
        .size:           8
        .value_kind:     global_buffer
      - .address_space:  global
        .offset:         16
        .size:           8
        .value_kind:     global_buffer
      - .address_space:  global
        .offset:         24
        .size:           8
        .value_kind:     global_buffer
      - .address_space:  global
        .offset:         32
        .size:           8
        .value_kind:     global_buffer
      - .address_space:  global
        .offset:         40
        .size:           8
        .value_kind:     global_buffer
      - .address_space:  global
        .offset:         48
        .size:           8
        .value_kind:     global_buffer
      - .address_space:  global
        .offset:         56
        .size:           8
        .value_kind:     global_buffer
      - .address_space:  global
        .offset:         64
        .size:           8
        .value_kind:     global_buffer
      - .address_space:  global
        .offset:         72
        .size:           8
        .value_kind:     global_buffer
      - .address_space:  global
        .offset:         80
        .size:           8
        .value_kind:     global_buffer
      - .address_space:  global
        .offset:         88
        .size:           8
        .value_kind:     global_buffer
      - .offset:         96
        .size:           4
        .value_kind:     hidden_block_count_x
      - .offset:         100
        .size:           4
        .value_kind:     hidden_block_count_y
      - .offset:         104
        .size:           4
        .value_kind:     hidden_block_count_z
      - .offset:         108
        .size:           2
        .value_kind:     hidden_group_size_x
      - .offset:         110
        .size:           2
        .value_kind:     hidden_group_size_y
      - .offset:         112
        .size:           2
        .value_kind:     hidden_group_size_z
      - .offset:         114
        .size:           2
        .value_kind:     hidden_remainder_x
      - .offset:         116
        .size:           2
        .value_kind:     hidden_remainder_y
      - .offset:         118
        .size:           2
        .value_kind:     hidden_remainder_z
      - .offset:         136
        .size:           8
        .value_kind:     hidden_global_offset_x
      - .offset:         144
        .size:           8
        .value_kind:     hidden_global_offset_y
      - .offset:         152
        .size:           8
        .value_kind:     hidden_global_offset_z
      - .offset:         160
        .size:           2
        .value_kind:     hidden_grid_dims
    .group_segment_fixed_size: 0
    .kernarg_segment_align: 8
    .kernarg_segment_size: 352
    .language:       OpenCL C
    .language_version:
      - 2
      - 0
    .max_flat_workgroup_size: 1024
    .name:           _Z12ReplaceSubgriPiS_S_S_S_PN2rw3CutEPNS0_7LibraryEPNS0_9TableNodeES6_S_S_
    .private_segment_fixed_size: 368
    .sgpr_count:     54
    .sgpr_spill_count: 0
    .symbol:         _Z12ReplaceSubgriPiS_S_S_S_PN2rw3CutEPNS0_7LibraryEPNS0_9TableNodeES6_S_S_.kd
    .uniform_work_group_size: 1
    .uses_dynamic_stack: true
    .vgpr_count:     91
    .vgpr_spill_count: 0
    .wavefront_size: 32
    .workgroup_processor_mode: 1
  - .args:
      - .offset:         0
        .size:           4
        .value_kind:     by_value
      - .address_space:  global
        .offset:         8
        .size:           8
        .value_kind:     global_buffer
      - .address_space:  global
        .offset:         16
        .size:           8
        .value_kind:     global_buffer
      - .address_space:  global
        .offset:         24
        .size:           8
        .value_kind:     global_buffer
      - .offset:         32
        .size:           4
        .value_kind:     hidden_block_count_x
      - .offset:         36
        .size:           4
        .value_kind:     hidden_block_count_y
      - .offset:         40
        .size:           4
        .value_kind:     hidden_block_count_z
      - .offset:         44
        .size:           2
        .value_kind:     hidden_group_size_x
      - .offset:         46
        .size:           2
        .value_kind:     hidden_group_size_y
      - .offset:         48
        .size:           2
        .value_kind:     hidden_group_size_z
      - .offset:         50
        .size:           2
        .value_kind:     hidden_remainder_x
      - .offset:         52
        .size:           2
        .value_kind:     hidden_remainder_y
      - .offset:         54
        .size:           2
        .value_kind:     hidden_remainder_z
      - .offset:         72
        .size:           8
        .value_kind:     hidden_global_offset_x
      - .offset:         80
        .size:           8
        .value_kind:     hidden_global_offset_y
      - .offset:         88
        .size:           8
        .value_kind:     hidden_global_offset_z
      - .offset:         96
        .size:           2
        .value_kind:     hidden_grid_dims
    .group_segment_fixed_size: 0
    .kernarg_segment_align: 8
    .kernarg_segment_size: 288
    .language:       OpenCL C
    .language_version:
      - 2
      - 0
    .max_flat_workgroup_size: 1024
    .name:           _Z15DetachAndAttachiPiS_S_
    .private_segment_fixed_size: 0
    .sgpr_count:     9
    .sgpr_spill_count: 0
    .symbol:         _Z15DetachAndAttachiPiS_S_.kd
    .uniform_work_group_size: 1
    .uses_dynamic_stack: false
    .vgpr_count:     7
    .vgpr_spill_count: 0
    .wavefront_size: 32
    .workgroup_processor_mode: 1
  - .args:
      - .offset:         0
        .size:           4
        .value_kind:     by_value
      - .address_space:  global
        .offset:         8
        .size:           8
        .value_kind:     global_buffer
      - .offset:         16
        .size:           4
        .value_kind:     hidden_block_count_x
      - .offset:         20
        .size:           4
        .value_kind:     hidden_block_count_y
      - .offset:         24
        .size:           4
        .value_kind:     hidden_block_count_z
      - .offset:         28
        .size:           2
        .value_kind:     hidden_group_size_x
      - .offset:         30
        .size:           2
        .value_kind:     hidden_group_size_y
      - .offset:         32
        .size:           2
        .value_kind:     hidden_group_size_z
      - .offset:         34
        .size:           2
        .value_kind:     hidden_remainder_x
      - .offset:         36
        .size:           2
        .value_kind:     hidden_remainder_y
      - .offset:         38
        .size:           2
        .value_kind:     hidden_remainder_z
      - .offset:         56
        .size:           8
        .value_kind:     hidden_global_offset_x
      - .offset:         64
        .size:           8
        .value_kind:     hidden_global_offset_y
      - .offset:         72
        .size:           8
        .value_kind:     hidden_global_offset_z
      - .offset:         80
        .size:           2
        .value_kind:     hidden_grid_dims
      - .offset:         96
        .size:           8
        .value_kind:     hidden_hostcall_buffer
    .group_segment_fixed_size: 0
    .kernarg_segment_align: 8
    .kernarg_segment_size: 272
    .language:       OpenCL C
    .language_version:
      - 2
      - 0
    .max_flat_workgroup_size: 1024
    .name:           _Z9printCutsiPN2rw3CutE
    .private_segment_fixed_size: 0
    .sgpr_count:     30
    .sgpr_spill_count: 0
    .symbol:         _Z9printCutsiPN2rw3CutE.kd
    .uniform_work_group_size: 1
    .uses_dynamic_stack: false
    .vgpr_count:     47
    .vgpr_spill_count: 0
    .wavefront_size: 32
    .workgroup_processor_mode: 1
  - .args:
      - .address_space:  global
        .offset:         0
        .size:           8
        .value_kind:     global_buffer
      - .address_space:  global
        .offset:         8
        .size:           8
        .value_kind:     global_buffer
      - .offset:         16
        .size:           4
        .value_kind:     by_value
      - .offset:         24
        .size:           4
        .value_kind:     hidden_block_count_x
      - .offset:         28
        .size:           4
        .value_kind:     hidden_block_count_y
      - .offset:         32
        .size:           4
        .value_kind:     hidden_block_count_z
      - .offset:         36
        .size:           2
        .value_kind:     hidden_group_size_x
      - .offset:         38
        .size:           2
        .value_kind:     hidden_group_size_y
      - .offset:         40
        .size:           2
        .value_kind:     hidden_group_size_z
      - .offset:         42
        .size:           2
        .value_kind:     hidden_remainder_x
      - .offset:         44
        .size:           2
        .value_kind:     hidden_remainder_y
      - .offset:         46
        .size:           2
        .value_kind:     hidden_remainder_z
      - .offset:         64
        .size:           8
        .value_kind:     hidden_global_offset_x
      - .offset:         72
        .size:           8
        .value_kind:     hidden_global_offset_y
      - .offset:         80
        .size:           8
        .value_kind:     hidden_global_offset_z
      - .offset:         88
        .size:           2
        .value_kind:     hidden_grid_dims
    .group_segment_fixed_size: 0
    .kernarg_segment_align: 8
    .kernarg_segment_size: 280
    .language:       OpenCL C
    .language_version:
      - 2
      - 0
    .max_flat_workgroup_size: 1024
    .name:           _Z7ConvertPiS_i
    .private_segment_fixed_size: 0
    .sgpr_count:     9
    .sgpr_spill_count: 0
    .symbol:         _Z7ConvertPiS_i.kd
    .uniform_work_group_size: 1
    .uses_dynamic_stack: false
    .vgpr_count:     5
    .vgpr_spill_count: 0
    .wavefront_size: 32
    .workgroup_processor_mode: 1
  - .args:
      - .address_space:  global
        .offset:         0
        .size:           8
        .value_kind:     global_buffer
      - .address_space:  global
        .offset:         8
        .size:           8
        .value_kind:     global_buffer
      - .offset:         16
        .size:           4
        .value_kind:     by_value
      - .offset:         24
        .size:           4
        .value_kind:     hidden_block_count_x
      - .offset:         28
        .size:           4
        .value_kind:     hidden_block_count_y
      - .offset:         32
        .size:           4
        .value_kind:     hidden_block_count_z
      - .offset:         36
        .size:           2
        .value_kind:     hidden_group_size_x
      - .offset:         38
        .size:           2
        .value_kind:     hidden_group_size_y
      - .offset:         40
        .size:           2
        .value_kind:     hidden_group_size_z
      - .offset:         42
        .size:           2
        .value_kind:     hidden_remainder_x
      - .offset:         44
        .size:           2
        .value_kind:     hidden_remainder_y
      - .offset:         46
        .size:           2
        .value_kind:     hidden_remainder_z
      - .offset:         64
        .size:           8
        .value_kind:     hidden_global_offset_x
      - .offset:         72
        .size:           8
        .value_kind:     hidden_global_offset_y
      - .offset:         80
        .size:           8
        .value_kind:     hidden_global_offset_z
      - .offset:         88
        .size:           2
        .value_kind:     hidden_grid_dims
    .group_segment_fixed_size: 0
    .kernarg_segment_align: 8
    .kernarg_segment_size: 280
    .language:       OpenCL C
    .language_version:
      - 2
      - 0
    .max_flat_workgroup_size: 1024
    .name:           _Z6RevertPiS_i
    .private_segment_fixed_size: 0
    .sgpr_count:     9
    .sgpr_spill_count: 0
    .symbol:         _Z6RevertPiS_i.kd
    .uniform_work_group_size: 1
    .uses_dynamic_stack: false
    .vgpr_count:     5
    .vgpr_spill_count: 0
    .wavefront_size: 32
    .workgroup_processor_mode: 1
  - .args:
      - .offset:         0
        .size:           4
        .value_kind:     by_value
      - .address_space:  global
        .offset:         8
        .size:           8
        .value_kind:     global_buffer
      - .address_space:  global
        .offset:         16
        .size:           8
        .value_kind:     global_buffer
      - .offset:         24
        .size:           4
        .value_kind:     hidden_block_count_x
      - .offset:         28
        .size:           4
        .value_kind:     hidden_block_count_y
      - .offset:         32
        .size:           4
        .value_kind:     hidden_block_count_z
      - .offset:         36
        .size:           2
        .value_kind:     hidden_group_size_x
      - .offset:         38
        .size:           2
        .value_kind:     hidden_group_size_y
      - .offset:         40
        .size:           2
        .value_kind:     hidden_group_size_z
      - .offset:         42
        .size:           2
        .value_kind:     hidden_remainder_x
      - .offset:         44
        .size:           2
        .value_kind:     hidden_remainder_y
      - .offset:         46
        .size:           2
        .value_kind:     hidden_remainder_z
      - .offset:         64
        .size:           8
        .value_kind:     hidden_global_offset_x
      - .offset:         72
        .size:           8
        .value_kind:     hidden_global_offset_y
      - .offset:         80
        .size:           8
        .value_kind:     hidden_global_offset_z
      - .offset:         88
        .size:           2
        .value_kind:     hidden_grid_dims
      - .offset:         104
        .size:           8
        .value_kind:     hidden_hostcall_buffer
    .group_segment_fixed_size: 0
    .kernarg_segment_align: 8
    .kernarg_segment_size: 280
    .language:       OpenCL C
    .language_version:
      - 2
      - 0
    .max_flat_workgroup_size: 1024
    .name:           _Z5printiPN2rw3CutEPi
    .private_segment_fixed_size: 0
    .sgpr_count:     28
    .sgpr_spill_count: 0
    .symbol:         _Z5printiPN2rw3CutEPi.kd
    .uniform_work_group_size: 1
    .uses_dynamic_stack: false
    .vgpr_count:     36
    .vgpr_spill_count: 0
    .wavefront_size: 32
    .workgroup_processor_mode: 1
  - .args:
      - .offset:         0
        .size:           4
        .value_kind:     by_value
      - .address_space:  global
        .offset:         8
        .size:           8
        .value_kind:     global_buffer
      - .address_space:  global
        .offset:         16
        .size:           8
        .value_kind:     global_buffer
      - .address_space:  global
        .offset:         24
        .size:           8
        .value_kind:     global_buffer
      - .address_space:  global
        .offset:         32
        .size:           8
        .value_kind:     global_buffer
      - .address_space:  global
        .offset:         40
        .size:           8
        .value_kind:     global_buffer
      - .address_space:  global
        .offset:         48
        .size:           8
        .value_kind:     global_buffer
      - .address_space:  global
        .offset:         56
        .size:           8
        .value_kind:     global_buffer
      - .address_space:  global
        .offset:         64
        .size:           8
        .value_kind:     global_buffer
      - .address_space:  global
        .offset:         72
        .size:           8
        .value_kind:     global_buffer
      - .address_space:  global
        .offset:         80
        .size:           8
        .value_kind:     global_buffer
      - .address_space:  global
        .offset:         88
        .size:           8
        .value_kind:     global_buffer
      - .address_space:  global
        .offset:         96
        .size:           8
        .value_kind:     global_buffer
      - .offset:         104
        .size:           4
        .value_kind:     by_value
      - .offset:         112
        .size:           4
        .value_kind:     hidden_block_count_x
      - .offset:         116
        .size:           4
        .value_kind:     hidden_block_count_y
      - .offset:         120
        .size:           4
        .value_kind:     hidden_block_count_z
      - .offset:         124
        .size:           2
        .value_kind:     hidden_group_size_x
      - .offset:         126
        .size:           2
        .value_kind:     hidden_group_size_y
      - .offset:         128
        .size:           2
        .value_kind:     hidden_group_size_z
      - .offset:         130
        .size:           2
        .value_kind:     hidden_remainder_x
      - .offset:         132
        .size:           2
        .value_kind:     hidden_remainder_y
      - .offset:         134
        .size:           2
        .value_kind:     hidden_remainder_z
      - .offset:         152
        .size:           8
        .value_kind:     hidden_global_offset_x
      - .offset:         160
        .size:           8
        .value_kind:     hidden_global_offset_y
      - .offset:         168
        .size:           8
        .value_kind:     hidden_global_offset_z
      - .offset:         176
        .size:           2
        .value_kind:     hidden_grid_dims
      - .offset:         192
        .size:           8
        .value_kind:     hidden_hostcall_buffer
    .group_segment_fixed_size: 0
    .kernarg_segment_align: 8
    .kernarg_segment_size: 368
    .language:       OpenCL C
    .language_version:
      - 2
      - 0
    .max_flat_workgroup_size: 1024
    .name:           _Z16EvaluateNodeWaveiPiS_S_S_S_S_PN2rw3CutES2_S_PNS0_7LibraryEPNS0_9TableNodeEPKii
    .private_segment_fixed_size: 608
    .sgpr_count:     107
    .sgpr_spill_count: 29
    .symbol:         _Z16EvaluateNodeWaveiPiS_S_S_S_S_PN2rw3CutES2_S_PNS0_7LibraryEPNS0_9TableNodeEPKii.kd
    .uniform_work_group_size: 1
    .uses_dynamic_stack: true
    .vgpr_count:     79
    .vgpr_spill_count: 0
    .wavefront_size: 32
    .workgroup_processor_mode: 1
amdhsa.target:   amdgcn-amd-amdhsa--gfx1030
amdhsa.version:
  - 1
  - 2
...

	.end_amdgpu_metadata
